;; amdgpu-corpus repo=ROCm/rocFFT kind=compiled arch=gfx1100 opt=O3
	.text
	.amdgcn_target "amdgcn-amd-amdhsa--gfx1100"
	.amdhsa_code_object_version 6
	.protected	bluestein_single_fwd_len3375_dim1_sp_op_CI_CI ; -- Begin function bluestein_single_fwd_len3375_dim1_sp_op_CI_CI
	.globl	bluestein_single_fwd_len3375_dim1_sp_op_CI_CI
	.p2align	8
	.type	bluestein_single_fwd_len3375_dim1_sp_op_CI_CI,@function
bluestein_single_fwd_len3375_dim1_sp_op_CI_CI: ; @bluestein_single_fwd_len3375_dim1_sp_op_CI_CI
; %bb.0:
	s_load_b128 s[16:19], s[0:1], 0x28
	v_mul_u32_u24_e32 v1, 0x124, v0
	s_mov_b32 s2, exec_lo
	v_mov_b32_e32 v155, 0
	s_delay_alu instid0(VALU_DEP_2) | instskip(NEXT) | instid1(VALU_DEP_1)
	v_lshrrev_b32_e32 v1, 16, v1
	v_add_nc_u32_e32 v154, s15, v1
	s_waitcnt lgkmcnt(0)
	s_delay_alu instid0(VALU_DEP_1)
	v_cmpx_gt_u64_e64 s[16:17], v[154:155]
	s_cbranch_execz .LBB0_2
; %bb.1:
	s_clause 0x1
	s_load_b128 s[4:7], s[0:1], 0x18
	s_load_b128 s[8:11], s[0:1], 0x0
	v_mul_lo_u16 v1, 0xe1, v1
	s_load_b64 s[0:1], s[0:1], 0x38
	s_delay_alu instid0(VALU_DEP_1) | instskip(NEXT) | instid1(VALU_DEP_1)
	v_sub_nc_u16 v90, v0, v1
	v_and_b32_e32 v164, 0xffff, v90
	s_waitcnt lgkmcnt(0)
	s_load_b128 s[12:15], s[4:5], 0x0
	s_waitcnt lgkmcnt(0)
	v_mad_u64_u32 v[0:1], null, s14, v154, 0
	v_mad_u64_u32 v[2:3], null, s12, v164, 0
	s_mul_i32 s3, s13, 0x1518
	s_mul_hi_u32 s4, s12, 0x1518
	s_delay_alu instid0(SALU_CYCLE_1) | instskip(SKIP_1) | instid1(VALU_DEP_1)
	s_add_i32 s3, s4, s3
	s_mul_i32 s4, s13, 0xffffb2a8
	v_mad_u64_u32 v[4:5], null, s15, v154, v[1:2]
	s_sub_i32 s4, s4, s12
	s_delay_alu instid0(VALU_DEP_1)
	v_mov_b32_e32 v1, v4
	v_mad_u64_u32 v[5:6], null, s13, v164, v[3:4]
	v_lshlrev_b32_e32 v157, 3, v164
	s_clause 0x2
	global_load_b64 v[124:125], v157, s[8:9]
	global_load_b64 v[126:127], v157, s[8:9] offset:1800
	global_load_b64 v[128:129], v157, s[8:9] offset:3600
	v_add_co_u32 v110, s2, s8, v157
	s_delay_alu instid0(VALU_DEP_1) | instskip(SKIP_2) | instid1(VALU_DEP_4)
	v_add_co_ci_u32_e64 v111, null, s9, 0, s2
	v_mov_b32_e32 v3, v5
	v_lshlrev_b64 v[0:1], 3, v[0:1]
	v_add_co_u32 v12, vcc_lo, 0x1000, v110
	s_delay_alu instid0(VALU_DEP_4) | instskip(NEXT) | instid1(VALU_DEP_4)
	v_add_co_ci_u32_e32 v13, vcc_lo, 0, v111, vcc_lo
	v_lshlrev_b64 v[2:3], 3, v[2:3]
	s_delay_alu instid0(VALU_DEP_4) | instskip(SKIP_2) | instid1(VALU_DEP_2)
	v_add_co_u32 v0, vcc_lo, s18, v0
	v_add_co_ci_u32_e32 v1, vcc_lo, s19, v1, vcc_lo
	s_mul_i32 s2, s12, 0x1518
	v_add_co_u32 v0, vcc_lo, v0, v2
	s_delay_alu instid0(VALU_DEP_2)
	v_add_co_ci_u32_e32 v1, vcc_lo, v1, v3, vcc_lo
	global_load_b64 v[134:135], v[12:13], off offset:1304
	v_add_co_u32 v2, vcc_lo, v0, s2
	v_add_co_ci_u32_e32 v3, vcc_lo, s3, v1, vcc_lo
	v_add_co_u32 v14, vcc_lo, 0x2000, v110
	v_add_co_ci_u32_e32 v15, vcc_lo, 0, v111, vcc_lo
	s_delay_alu instid0(VALU_DEP_4) | instskip(NEXT) | instid1(VALU_DEP_4)
	v_add_co_u32 v4, vcc_lo, v2, s2
	v_add_co_ci_u32_e32 v5, vcc_lo, s3, v3, vcc_lo
	v_add_co_u32 v16, vcc_lo, 0x3000, v110
	v_add_co_ci_u32_e32 v17, vcc_lo, 0, v111, vcc_lo
	s_delay_alu instid0(VALU_DEP_4) | instskip(NEXT) | instid1(VALU_DEP_4)
	;; [unrolled: 5-line block ×3, first 2 shown]
	v_add_co_u32 v22, vcc_lo, v18, s2
	v_add_co_ci_u32_e32 v23, vcc_lo, s3, v19, vcc_lo
	v_add_co_u32 v30, vcc_lo, 0x4000, v110
	s_clause 0x1
	global_load_b64 v[136:137], v[14:15], off offset:2608
	global_load_b64 v[130:131], v[16:17], off offset:3912
	v_mad_u64_u32 v[24:25], null, 0xffffb2a8, s12, v[22:23]
	global_load_b64 v[132:133], v[20:21], off offset:1120
	s_clause 0x1
	global_load_b64 v[10:11], v[0:1], off
	global_load_b64 v[8:9], v[2:3], off
	v_add_co_ci_u32_e32 v31, vcc_lo, 0, v111, vcc_lo
	s_clause 0x2
	global_load_b64 v[6:7], v[4:5], off
	global_load_b64 v[0:1], v[18:19], off
	global_load_b64 v[2:3], v[22:23], off
	v_add_nc_u32_e32 v25, s4, v25
	v_add_co_u32 v26, vcc_lo, v24, s2
	v_and_b32_e32 v51, 0xff, v90
	v_add_co_u32 v91, null, 0x1c2, v164
	s_delay_alu instid0(VALU_DEP_4) | instskip(NEXT) | instid1(VALU_DEP_4)
	v_add_co_ci_u32_e32 v27, vcc_lo, s3, v25, vcc_lo
	v_add_co_u32 v28, vcc_lo, v26, s2
	global_load_b64 v[4:5], v[24:25], off
	v_add_co_ci_u32_e32 v29, vcc_lo, s3, v27, vcc_lo
	v_add_co_u32 v22, vcc_lo, v28, s2
	global_load_b64 v[138:139], v[12:13], off offset:3104
	global_load_b64 v[18:19], v[26:27], off
	v_add_co_ci_u32_e32 v23, vcc_lo, s3, v29, vcc_lo
	v_add_co_u32 v24, vcc_lo, v22, s2
	s_clause 0x3
	global_load_b64 v[144:145], v[16:17], off offset:312
	global_load_b64 v[146:147], v[30:31], off offset:1616
	;; [unrolled: 1-line block ×4, first 2 shown]
	global_load_b64 v[28:29], v[28:29], off
	global_load_b64 v[142:143], v[16:17], off offset:2112
	global_load_b64 v[26:27], v[22:23], off
	v_add_co_ci_u32_e32 v25, vcc_lo, s3, v23, vcc_lo
	v_add_co_u32 v108, vcc_lo, 0x6000, v110
	v_add_co_ci_u32_e32 v109, vcc_lo, 0, v111, vcc_lo
	s_delay_alu instid0(VALU_DEP_3) | instskip(SKIP_3) | instid1(VALU_DEP_2)
	v_mad_u64_u32 v[12:13], null, 0xffffb2a8, s12, v[24:25]
	global_load_b64 v[24:25], v[24:25], off
	v_add_nc_u32_e32 v13, s4, v13
	v_add_co_u32 v14, vcc_lo, v12, s2
	v_add_co_ci_u32_e32 v15, vcc_lo, s3, v13, vcc_lo
	global_load_b64 v[16:17], v[12:13], off
	v_add_co_u32 v12, vcc_lo, v14, s2
	v_add_co_ci_u32_e32 v13, vcc_lo, s3, v15, vcc_lo
	global_load_b64 v[20:21], v[14:15], off
	;; [unrolled: 3-line block ×3, first 2 shown]
	v_add_co_u32 v22, vcc_lo, v14, s2
	v_add_co_ci_u32_e32 v23, vcc_lo, s3, v15, vcc_lo
	global_load_b64 v[150:151], v[30:31], off offset:3416
	global_load_b64 v[14:15], v[14:15], off
	global_load_b64 v[152:153], v[108:109], off offset:624
	global_load_b64 v[22:23], v[22:23], off
	v_mul_lo_u16 v30, v90, 5
	v_add_co_u32 v92, s2, 0xe1, v164
	v_mul_lo_u16 v31, 0xcd, v51
	s_load_b128 s[4:7], s[6:7], 0x0
	s_delay_alu instid0(VALU_DEP_3) | instskip(NEXT) | instid1(VALU_DEP_3)
	v_and_b32_e32 v30, 0xffff, v30
	v_and_b32_e32 v48, 0xffff, v92
	v_add_co_ci_u32_e64 v70, null, 0, 0, s2
	v_lshrrev_b16 v50, 10, v31
	s_delay_alu instid0(VALU_DEP_4) | instskip(NEXT) | instid1(VALU_DEP_4)
	v_lshlrev_b32_e32 v116, 3, v30
	v_mul_u32_u24_e32 v31, 0xcccd, v48
	v_cmp_gt_u16_e32 vcc_lo, 0x7d, v90
	s_delay_alu instid0(VALU_DEP_4) | instskip(NEXT) | instid1(VALU_DEP_3)
	v_mul_lo_u16 v32, v50, 5
	v_lshrrev_b32_e32 v53, 18, v31
	s_delay_alu instid0(VALU_DEP_2) | instskip(NEXT) | instid1(VALU_DEP_2)
	v_sub_nc_u16 v34, v90, v32
	v_mul_lo_u16 v35, v53, 5
	s_waitcnt lgkmcnt(0)
	s_mul_i32 s3, s5, 0x1518
	s_waitcnt vmcnt(22)
	v_mul_f32_e32 v30, v11, v125
	v_mul_f32_e32 v31, v10, v125
	v_add_nc_u32_e32 v113, 0x3100, v157
	v_add_nc_u32_e32 v158, 0x4600, v157
	s_waitcnt vmcnt(20)
	v_mul_f32_e32 v32, v7, v137
	v_fmac_f32_e32 v30, v10, v124
	v_dual_mul_f32 v10, v9, v135 :: v_dual_add_nc_u32 v159, 0x1c00, v157
	v_fma_f32 v31, v11, v124, -v31
	v_dual_mul_f32 v11, v8, v135 :: v_dual_add_nc_u32 v112, 0x5b00, v157
	s_delay_alu instid0(VALU_DEP_3)
	v_fmac_f32_e32 v10, v8, v134
	s_waitcnt vmcnt(19)
	v_mul_f32_e32 v8, v1, v131
	v_and_b32_e32 v49, 0xffff, v91
	v_add_nc_u32_e32 v160, 0xe00, v157
	v_dual_fmac_f32 v32, v6, v136 :: v_dual_add_nc_u32 v161, 0x3800, v157
	s_delay_alu instid0(VALU_DEP_4) | instskip(NEXT) | instid1(VALU_DEP_4)
	v_fmac_f32_e32 v8, v0, v130
	v_mul_u32_u24_e32 v33, 0xcccd, v49
	v_add_nc_u32_e32 v163, 0x5400, v157
	s_waitcnt vmcnt(17)
	v_dual_mul_f32 v36, v2, v133 :: v_dual_mul_f32 v37, v4, v127
	v_add_nc_u32_e32 v162, 0x2a00, v157
	v_lshrrev_b32_e32 v55, 18, v33
	v_dual_mul_f32 v33, v6, v137 :: v_dual_mul_f32 v6, v5, v127
	v_fma_f32 v11, v9, v134, -v11
	s_delay_alu instid0(VALU_DEP_2) | instskip(SKIP_1) | instid1(VALU_DEP_4)
	v_fma_f32 v33, v7, v136, -v33
	v_dual_mul_f32 v7, v0, v131 :: v_dual_mul_f32 v0, v3, v133
	v_fmac_f32_e32 v6, v4, v126
	s_waitcnt vmcnt(8)
	v_mul_f32_e32 v4, v27, v147
	s_delay_alu instid0(VALU_DEP_3)
	v_fma_f32 v9, v1, v130, -v7
	v_fma_f32 v1, v3, v132, -v36
	;; [unrolled: 1-line block ×3, first 2 shown]
	v_mul_f32_e32 v3, v18, v139
	v_mul_f32_e32 v5, v26, v147
	v_fmac_f32_e32 v0, v2, v132
	v_mul_f32_e32 v2, v19, v139
	ds_store_b64 v157, v[10:11] offset:5400
	ds_store_b64 v157, v[32:33] offset:10800
	;; [unrolled: 1-line block ×4, first 2 shown]
	v_fma_f32 v3, v19, v138, -v3
	v_mul_f32_e32 v1, v28, v145
	v_fma_f32 v5, v27, v146, -v5
	s_waitcnt vmcnt(6)
	v_mul_f32_e32 v9, v16, v129
	v_mul_f32_e32 v8, v17, v129
	v_fma_f32 v1, v29, v144, -v1
	s_waitcnt vmcnt(5)
	v_mul_f32_e32 v10, v21, v141
	v_mul_f32_e32 v11, v20, v141
	v_fma_f32 v9, v17, v128, -v9
	v_fmac_f32_e32 v8, v16, v128
	v_fmac_f32_e32 v4, v26, v146
	;; [unrolled: 1-line block ×3, first 2 shown]
	s_waitcnt vmcnt(4)
	v_mul_f32_e32 v17, v12, v143
	v_mul_f32_e32 v16, v13, v143
	s_waitcnt vmcnt(2)
	v_mul_f32_e32 v19, v14, v151
	ds_store_2addr_b64 v157, v[30:31], v[6:7] offset1:225
	v_dual_mul_f32 v7, v24, v149 :: v_dual_fmac_f32 v2, v18, v138
	s_waitcnt vmcnt(0)
	v_mul_f32_e32 v20, v22, v153
	v_mul_f32_e32 v18, v23, v153
	v_fma_f32 v17, v13, v142, -v17
	v_fma_f32 v13, v15, v150, -v19
	v_fmac_f32_e32 v16, v12, v142
	v_fma_f32 v19, v23, v152, -v20
	v_mul_u32_u24_e32 v23, 5, v91
	v_mul_f32_e32 v0, v29, v145
	v_mul_f32_e32 v12, v15, v151
	;; [unrolled: 1-line block ×3, first 2 shown]
	v_fma_f32 v11, v21, v140, -v11
	s_delay_alu instid0(VALU_DEP_4) | instskip(NEXT) | instid1(VALU_DEP_4)
	v_dual_fmac_f32 v0, v28, v144 :: v_dual_lshlrev_b32 v117, 3, v23
	v_fmac_f32_e32 v12, v14, v150
	s_delay_alu instid0(VALU_DEP_4)
	v_fmac_f32_e32 v6, v24, v148
	v_fma_f32 v7, v25, v148, -v7
	v_fmac_f32_e32 v18, v22, v152
	ds_store_b64 v157, v[8:9] offset:3600
	ds_store_2addr_b64 v159, v[2:3], v[10:11] offset0:4 offset1:229
	ds_store_2addr_b64 v113, v[0:1], v[16:17] offset0:7 offset1:232
	;; [unrolled: 1-line block ×4, first 2 shown]
	v_sub_nc_u16 v0, v92, v35
	s_waitcnt lgkmcnt(0)
	s_barrier
	buffer_gl0_inv
	ds_load_2addr_b64 v[3:6], v157 offset1:225
	ds_load_2addr_b64 v[7:10], v160 offset0:2 offset1:227
	ds_load_2addr_b64 v[11:14], v162 offset0:6 offset1:231
	;; [unrolled: 1-line block ×4, first 2 shown]
	v_mul_u32_u24_e32 v1, 5, v92
	v_mul_lo_u16 v24, v55, 5
	v_lshlrev_b16 v25, 2, v0
	v_and_b32_e32 v2, 0xff, v34
	v_mad_u16 v0, v53, 25, v0
	v_lshlrev_b32_e32 v118, 3, v1
	v_sub_nc_u16 v1, v91, v24
	v_and_b32_e32 v34, 0xffff, v25
	ds_load_2addr_b64 v[23:26], v159 offset0:4 offset1:229
	ds_load_2addr_b64 v[27:30], v158 offset0:10 offset1:235
	ds_load_b64 v[31:32], v157 offset:25200
	s_waitcnt lgkmcnt(0)
	s_barrier
	buffer_gl0_inv
	v_add_f32_e32 v35, v3, v9
	v_dual_sub_f32 v39, v9, v11 :: v_dual_add_f32 v36, v11, v17
	v_dual_add_f32 v41, v9, v19 :: v_dual_sub_f32 v38, v12, v18
	v_sub_f32_e32 v40, v19, v17
	v_dual_sub_f32 v42, v11, v9 :: v_dual_sub_f32 v43, v17, v19
	v_sub_f32_e32 v46, v9, v19
	v_dual_sub_f32 v52, v10, v12 :: v_dual_sub_f32 v83, v15, v25
	v_dual_sub_f32 v58, v18, v20 :: v_dual_add_f32 v35, v35, v11
	v_add_f32_e32 v59, v5, v23
	v_dual_add_f32 v60, v13, v27 :: v_dual_add_f32 v93, v26, v32
	v_add_f32_e32 v65, v23, v21
	v_sub_f32_e32 v71, v23, v21
	v_sub_f32_e32 v79, v16, v30
	v_fma_f32 v9, -0.5, v36, v3
	v_fma_f32 v3, -0.5, v41, v3
	v_sub_f32_e32 v84, v29, v31
	v_dual_add_f32 v44, v4, v10 :: v_dual_add_f32 v77, v15, v29
	v_add_f32_e32 v45, v12, v18
	v_sub_f32_e32 v47, v11, v17
	v_dual_sub_f32 v57, v12, v10 :: v_dual_sub_f32 v64, v21, v27
	v_dual_sub_f32 v67, v27, v21 :: v_dual_sub_f32 v72, v13, v27
	v_dual_add_f32 v35, v35, v17 :: v_dual_add_f32 v82, v25, v31
	v_fmamk_f32 v17, v38, 0xbf737871, v3
	v_add_f32_e32 v85, v8, v26
	v_dual_sub_f32 v87, v25, v31 :: v_dual_add_f32 v74, v24, v22
	v_fma_f32 v11, -0.5, v60, v5
	v_fma_f32 v5, -0.5, v65, v5
	v_dual_add_f32 v36, v39, v40 :: v_dual_add_f32 v39, v42, v43
	v_add_f32_e32 v43, v59, v13
	v_dual_fmac_f32 v3, 0x3f737871, v38 :: v_dual_sub_f32 v66, v13, v23
	v_add_f32_e32 v59, v83, v84
	v_add_f32_e32 v76, v7, v25
	v_dual_add_f32 v56, v10, v20 :: v_dual_sub_f32 v89, v32, v30
	v_dual_add_f32 v69, v14, v28 :: v_dual_sub_f32 v54, v20, v18
	v_sub_f32_e32 v37, v10, v20
	v_sub_f32_e32 v61, v24, v22
	;; [unrolled: 1-line block ×6, first 2 shown]
	v_dual_add_f32 v86, v16, v30 :: v_dual_add_f32 v43, v43, v27
	v_fma_f32 v10, -0.5, v45, v4
	v_add_f32_e32 v45, v66, v67
	v_add_f32_e32 v68, v6, v24
	v_fma_f32 v13, -0.5, v77, v7
	v_dual_add_f32 v42, v57, v58 :: v_dual_add_f32 v57, v76, v15
	v_add_f32_e32 v40, v44, v12
	v_fma_f32 v4, -0.5, v56, v4
	v_dual_sub_f32 v75, v28, v22 :: v_dual_sub_f32 v80, v25, v15
	v_sub_f32_e32 v25, v26, v16
	v_dual_sub_f32 v62, v14, v28 :: v_dual_add_f32 v41, v52, v54
	v_sub_f32_e32 v24, v14, v24
	v_fma_f32 v12, -0.5, v69, v6
	v_sub_f32_e32 v26, v16, v26
	v_sub_f32_e32 v94, v30, v32
	v_dual_fmac_f32 v6, -0.5, v74 :: v_dual_add_f32 v19, v35, v19
	v_sub_f32_e32 v81, v31, v29
	v_sub_f32_e32 v88, v15, v29
	v_fma_f32 v7, -0.5, v82, v7
	v_add_f32_e32 v52, v68, v14
	v_add_f32_e32 v54, v23, v73
	v_dual_add_f32 v60, v85, v16 :: v_dual_fmac_f32 v17, 0x3f167918, v37
	v_fma_f32 v14, -0.5, v86, v8
	v_fmamk_f32 v15, v37, 0x3f737871, v9
	v_fmac_f32_e32 v9, 0xbf737871, v37
	v_dual_fmamk_f32 v23, v61, 0x3f737871, v11 :: v_dual_fmac_f32 v8, -0.5, v93
	v_dual_add_f32 v57, v57, v29 :: v_dual_fmamk_f32 v16, v46, 0xbf737871, v10
	v_dual_add_f32 v40, v40, v18 :: v_dual_add_f32 v21, v43, v21
	v_fmamk_f32 v18, v47, 0x3f737871, v4
	v_fmac_f32_e32 v4, 0xbf737871, v47
	v_fmac_f32_e32 v10, 0x3f737871, v46
	v_dual_add_f32 v44, v63, v64 :: v_dual_add_f32 v63, v25, v89
	v_dual_add_f32 v56, v24, v75 :: v_dual_fmac_f32 v15, 0x3f167918, v38
	v_dual_fmamk_f32 v25, v62, 0xbf737871, v5 :: v_dual_fmamk_f32 v24, v71, 0xbf737871, v12
	v_fmac_f32_e32 v11, 0xbf737871, v61
	v_fmac_f32_e32 v5, 0x3f737871, v62
	v_dual_add_f32 v64, v26, v94 :: v_dual_fmac_f32 v3, 0xbf167918, v37
	v_fmamk_f32 v26, v72, 0x3f737871, v6
	v_fmac_f32_e32 v6, 0xbf737871, v72
	v_dual_add_f32 v58, v80, v81 :: v_dual_fmac_f32 v9, 0xbf167918, v38
	v_dual_fmac_f32 v12, 0x3f737871, v71 :: v_dual_fmamk_f32 v27, v78, 0x3f737871, v13
	v_fmac_f32_e32 v13, 0xbf737871, v78
	v_dual_fmamk_f32 v29, v79, 0xbf737871, v7 :: v_dual_add_f32 v52, v52, v28
	v_fmac_f32_e32 v11, 0xbf167918, v62
	v_dual_fmac_f32 v7, 0x3f737871, v79 :: v_dual_add_f32 v60, v60, v30
	v_fmac_f32_e32 v25, 0x3f167918, v61
	v_fmamk_f32 v28, v87, 0xbf737871, v14
	v_fmac_f32_e32 v14, 0x3f737871, v87
	v_fmac_f32_e32 v23, 0x3f167918, v62
	v_fmamk_f32 v30, v88, 0x3f737871, v8
	v_dual_fmac_f32 v8, 0xbf737871, v88 :: v_dual_add_f32 v31, v57, v31
	v_dual_fmac_f32 v16, 0xbf167918, v47 :: v_dual_fmac_f32 v7, 0xbf167918, v78
	v_dual_fmac_f32 v18, 0xbf167918, v46 :: v_dual_fmac_f32 v13, 0xbf167918, v79
	;; [unrolled: 1-line block ×4, first 2 shown]
	v_fmac_f32_e32 v24, 0xbf167918, v72
	v_dual_add_f32 v20, v40, v20 :: v_dual_fmac_f32 v5, 0xbf167918, v61
	v_fmac_f32_e32 v26, 0xbf167918, v71
	v_fmac_f32_e32 v6, 0x3f167918, v71
	v_dual_add_f32 v22, v52, v22 :: v_dual_fmac_f32 v15, 0x3e9e377a, v36
	v_fmac_f32_e32 v12, 0x3f167918, v72
	v_fmac_f32_e32 v28, 0xbf167918, v88
	;; [unrolled: 1-line block ×5, first 2 shown]
	v_dual_fmac_f32 v9, 0x3e9e377a, v36 :: v_dual_fmac_f32 v16, 0x3e9e377a, v41
	v_dual_add_f32 v32, v60, v32 :: v_dual_fmac_f32 v17, 0x3e9e377a, v39
	v_dual_fmac_f32 v3, 0x3e9e377a, v39 :: v_dual_fmac_f32 v10, 0x3e9e377a, v41
	v_dual_fmac_f32 v18, 0x3e9e377a, v42 :: v_dual_fmac_f32 v23, 0x3e9e377a, v44
	;; [unrolled: 1-line block ×7, first 2 shown]
	v_lshlrev_b32_e32 v33, 5, v2
	v_dual_fmac_f32 v29, 0x3e9e377a, v59 :: v_dual_fmac_f32 v8, 0x3e9e377a, v64
	v_dual_fmac_f32 v7, 0x3e9e377a, v59 :: v_dual_fmac_f32 v30, 0x3e9e377a, v64
	v_fmac_f32_e32 v28, 0x3e9e377a, v63
	v_fmac_f32_e32 v14, 0x3e9e377a, v63
	ds_store_2addr_b64 v116, v[19:20], v[15:16] offset1:1
	ds_store_2addr_b64 v116, v[17:18], v[3:4] offset0:2 offset1:3
	ds_store_b64 v116, v[9:10] offset:32
	ds_store_2addr_b64 v118, v[21:22], v[23:24] offset1:1
	ds_store_2addr_b64 v118, v[25:26], v[5:6] offset0:2 offset1:3
	ds_store_b64 v118, v[11:12] offset:32
	ds_store_b64 v117, v[13:14] offset:32
	ds_store_2addr_b64 v117, v[31:32], v[27:28] offset1:1
	ds_store_2addr_b64 v117, v[29:30], v[7:8] offset0:2 offset1:3
	v_lshlrev_b16 v3, 2, v1
	v_lshlrev_b32_e32 v4, 3, v34
	s_waitcnt lgkmcnt(0)
	s_barrier
	buffer_gl0_inv
	s_clause 0x1
	global_load_b128 v[44:47], v33, s[10:11]
	global_load_b128 v[36:39], v4, s[10:11]
	v_and_b32_e32 v3, 0xffff, v3
	global_load_b128 v[28:31], v33, s[10:11] offset:16
	v_mul_u32_u24_e32 v5, 0x47af, v49
	v_mul_u32_u24_e32 v49, 0x625, v49
	v_lshlrev_b32_e32 v3, 3, v3
	s_clause 0x2
	global_load_b128 v[32:35], v4, s[10:11] offset:16
	global_load_b128 v[40:43], v3, s[10:11]
	global_load_b128 v[24:27], v3, s[10:11] offset:16
	v_mul_u32_u24_e32 v3, 0x47af, v48
	v_mul_lo_u16 v4, v51, 41
	ds_load_2addr_b64 v[57:60], v158 offset0:10 offset1:235
	ds_load_2addr_b64 v[14:17], v163 offset0:12 offset1:237
	v_mul_u32_u24_e32 v48, 0x625, v48
	v_lshrrev_b32_e32 v3, 16, v3
	v_lshrrev_b16 v52, 10, v4
	v_lshrrev_b32_e32 v4, 16, v5
	s_delay_alu instid0(VALU_DEP_3) | instskip(NEXT) | instid1(VALU_DEP_3)
	v_sub_nc_u16 v5, v92, v3
	v_mul_lo_u16 v6, v52, 25
	s_delay_alu instid0(VALU_DEP_3) | instskip(NEXT) | instid1(VALU_DEP_3)
	v_sub_nc_u16 v7, v91, v4
	v_lshrrev_b16 v5, 1, v5
	s_delay_alu instid0(VALU_DEP_3) | instskip(NEXT) | instid1(VALU_DEP_3)
	v_sub_nc_u16 v6, v90, v6
	v_lshrrev_b16 v7, 1, v7
	s_delay_alu instid0(VALU_DEP_3) | instskip(NEXT) | instid1(VALU_DEP_2)
	v_add_nc_u16 v3, v5, v3
	v_add_nc_u16 v5, v7, v4
	s_delay_alu instid0(VALU_DEP_2) | instskip(NEXT) | instid1(VALU_DEP_2)
	v_lshrrev_b16 v51, 4, v3
	v_lshrrev_b16 v54, 4, v5
	v_mad_u16 v5, v55, 25, v1
	s_delay_alu instid0(VALU_DEP_3) | instskip(NEXT) | instid1(VALU_DEP_3)
	v_mul_lo_u16 v10, v51, 25
	v_mul_lo_u16 v18, v54, 25
	s_delay_alu instid0(VALU_DEP_2)
	v_sub_nc_u16 v55, v92, v10
	ds_load_2addr_b64 v[10:13], v161 offset0:8 offset1:233
	v_sub_nc_u16 v56, v91, v18
	ds_load_2addr_b64 v[18:21], v159 offset0:4 offset1:229
	v_lshlrev_b16 v23, 5, v55
	s_waitcnt vmcnt(4) lgkmcnt(0)
	s_delay_alu instid0(VALU_DEP_1)
	v_dual_mul_f32 v74, v19, v37 :: v_dual_and_b32 v53, 0xffff, v23
	v_mul_f32_e32 v75, v18, v37
	s_waitcnt vmcnt(3)
	v_mul_f32_e32 v69, v13, v29
	v_mul_f32_e32 v71, v12, v29
	;; [unrolled: 1-line block ×3, first 2 shown]
	v_fmac_f32_e32 v75, v19, v36
	s_delay_alu instid0(VALU_DEP_4)
	v_fma_f32 v12, v12, v28, -v69
	s_waitcnt vmcnt(2)
	v_mul_f32_e32 v79, v57, v33
	s_waitcnt vmcnt(1)
	v_mul_f32_e32 v85, v10, v43
	s_waitcnt vmcnt(0)
	v_dual_mul_f32 v87, v59, v25 :: v_dual_and_b32 v8, 0xffff, v50
	v_and_b32_e32 v50, 0xff, v6
	s_delay_alu instid0(VALU_DEP_3) | instskip(NEXT) | instid1(VALU_DEP_3)
	v_dual_fmac_f32 v85, v11, v42 :: v_dual_and_b32 v22, 0xffff, v0
	v_fmac_f32_e32 v87, v60, v24
	s_delay_alu instid0(VALU_DEP_4)
	v_mul_u32_u24_e32 v8, 25, v8
	v_mul_f32_e32 v83, v20, v41
	v_fmac_f32_e32 v71, v13, v28
	v_mul_f32_e32 v81, v16, v35
	v_fmac_f32_e32 v73, v15, v30
	v_add_lshl_u32 v166, v8, v2, 3
	ds_load_2addr_b64 v[0:3], v160 offset0:2 offset1:227
	ds_load_2addr_b64 v[6:9], v162 offset0:6 offset1:231
	v_and_b32_e32 v5, 0xffff, v5
	v_dual_mul_f32 v86, v60, v25 :: v_dual_fmac_f32 v79, v58, v32
	v_fmac_f32_e32 v83, v21, v40
	v_fmac_f32_e32 v81, v17, v34
	s_delay_alu instid0(VALU_DEP_1)
	v_add_f32_e32 v101, v75, v81
	s_waitcnt lgkmcnt(1)
	v_mul_f32_e32 v65, v3, v45
	s_waitcnt lgkmcnt(0)
	v_dual_mul_f32 v66, v2, v45 :: v_dual_mul_f32 v67, v7, v47
	v_mul_f32_e32 v68, v6, v47
	v_mul_f32_e32 v77, v8, v39
	v_fma_f32 v2, v2, v44, -v65
	s_delay_alu instid0(VALU_DEP_4)
	v_fmac_f32_e32 v66, v3, v44
	v_fma_f32 v3, v6, v46, -v67
	v_lshlrev_b32_e32 v168, 3, v22
	ds_load_2addr_b64 v[61:64], v157 offset1:225
	ds_load_b64 v[22:23], v157 offset:25200
	v_mul_f32_e32 v72, v15, v31
	v_fma_f32 v6, v18, v36, -v74
	v_fmac_f32_e32 v68, v7, v46
	v_fmac_f32_e32 v77, v9, v38
	v_dual_sub_f32 v13, v2, v3 :: v_dual_sub_f32 v74, v71, v73
	v_add_f32_e32 v121, v1, v83
	v_lshlrev_b32_e32 v167, 3, v5
	s_delay_alu instid0(VALU_DEP_4)
	v_sub_f32_e32 v99, v75, v77
	v_lshlrev_b16 v5, 5, v56
	s_waitcnt lgkmcnt(0)
	s_barrier
	buffer_gl0_inv
	v_and_b32_e32 v5, 0xffff, v5
	v_add_f32_e32 v95, v64, v75
	v_mul_f32_e32 v89, v22, v27
	v_mul_f32_e32 v76, v9, v39
	v_dual_mul_f32 v78, v58, v33 :: v_dual_add_f32 v9, v61, v2
	v_fma_f32 v65, v14, v30, -v72
	s_delay_alu instid0(VALU_DEP_4) | instskip(NEXT) | instid1(VALU_DEP_4)
	v_fmac_f32_e32 v89, v23, v26
	v_fma_f32 v8, v8, v38, -v76
	v_mul_f32_e32 v80, v17, v35
	s_delay_alu instid0(VALU_DEP_4) | instskip(SKIP_1) | instid1(VALU_DEP_4)
	v_dual_mul_f32 v84, v11, v43 :: v_dual_sub_f32 v17, v12, v65
	v_add_f32_e32 v15, v2, v65
	v_dual_sub_f32 v93, v8, v6 :: v_dual_mul_f32 v82, v21, v41
	v_dual_add_f32 v19, v62, v66 :: v_dual_mul_f32 v88, v23, v27
	v_fma_f32 v67, v16, v34, -v80
	v_dual_sub_f32 v14, v65, v12 :: v_dual_add_f32 v21, v68, v71
	v_fma_f32 v18, v57, v32, -v78
	v_fma_f32 v7, v20, v40, -v82
	s_delay_alu instid0(VALU_DEP_4) | instskip(SKIP_2) | instid1(VALU_DEP_4)
	v_sub_f32_e32 v97, v6, v67
	v_fma_f32 v10, v10, v42, -v84
	v_add_f32_e32 v11, v3, v12
	v_dual_sub_f32 v16, v3, v2 :: v_dual_add_f32 v103, v0, v7
	s_delay_alu instid0(VALU_DEP_3)
	v_dual_sub_f32 v60, v2, v65 :: v_dual_sub_f32 v107, v7, v10
	v_dual_sub_f32 v72, v3, v12 :: v_dual_sub_f32 v119, v10, v7
	v_sub_f32_e32 v23, v73, v71
	v_fma_f32 v20, v59, v24, -v86
	v_add_f32_e32 v57, v66, v73
	v_fma_f32 v69, v22, v26, -v88
	v_dual_add_f32 v88, v6, v67 :: v_dual_add_f32 v169, v83, v89
	v_add_f32_e32 v96, v77, v79
	v_dual_sub_f32 v98, v8, v18 :: v_dual_add_f32 v171, v9, v3
	v_dual_add_f32 v172, v13, v14 :: v_dual_add_f32 v13, v19, v68
	v_fma_f32 v3, -0.5, v21, v62
	v_dual_add_f32 v76, v63, v6 :: v_dual_sub_f32 v155, v10, v20
	v_dual_add_f32 v78, v8, v18 :: v_dual_sub_f32 v105, v83, v89
	v_sub_f32_e32 v58, v66, v73
	v_sub_f32_e32 v22, v66, v68
	;; [unrolled: 1-line block ×3, first 2 shown]
	v_dual_sub_f32 v80, v75, v81 :: v_dual_sub_f32 v165, v89, v87
	v_dual_sub_f32 v82, v77, v79 :: v_dual_add_f32 v115, v7, v69
	v_dual_sub_f32 v84, v6, v8 :: v_dual_sub_f32 v123, v7, v69
	v_dual_sub_f32 v75, v77, v75 :: v_dual_sub_f32 v102, v79, v81
	v_sub_f32_e32 v156, v83, v85
	v_fma_f32 v2, -0.5, v11, v61
	v_fma_f32 v6, -0.5, v15, v61
	v_add_f32_e32 v61, v13, v71
	v_dual_fmamk_f32 v13, v60, 0xbf737871, v3 :: v_dual_add_f32 v104, v10, v20
	v_dual_add_f32 v75, v75, v102 :: v_dual_add_f32 v122, v85, v87
	v_dual_sub_f32 v59, v68, v71 :: v_dual_lshlrev_b32 v4, 5, v50
	v_dual_sub_f32 v86, v67, v18 :: v_dual_sub_f32 v83, v85, v83
	v_dual_sub_f32 v94, v18, v67 :: v_dual_add_f32 v173, v16, v17
	v_fma_f32 v7, -0.5, v57, v62
	v_dual_sub_f32 v100, v81, v79 :: v_dual_add_f32 v17, v95, v77
	v_dual_sub_f32 v114, v69, v20 :: v_dual_add_f32 v21, v103, v10
	v_add_f32_e32 v16, v76, v8
	v_fma_f32 v8, -0.5, v78, v63
	v_fma_f32 v9, -0.5, v96, v64
	;; [unrolled: 1-line block ×3, first 2 shown]
	v_dual_fmac_f32 v64, -0.5, v101 :: v_dual_add_f32 v71, v17, v79
	v_dual_sub_f32 v106, v85, v87 :: v_dual_add_f32 v77, v99, v100
	v_dual_sub_f32 v170, v87, v89 :: v_dual_fmac_f32 v3, 0x3f737871, v60
	v_sub_f32_e32 v120, v20, v69
	v_dual_add_f32 v68, v22, v23 :: v_dual_add_f32 v23, v121, v85
	v_dual_add_f32 v66, v66, v74 :: v_dual_add_f32 v57, v171, v12
	v_fma_f32 v10, -0.5, v104, v0
	v_fma_f32 v0, -0.5, v115, v0
	v_add_f32_e32 v85, v156, v165
	v_fma_f32 v11, -0.5, v122, v1
	v_dual_fmac_f32 v1, -0.5, v169 :: v_dual_fmamk_f32 v12, v58, 0x3f737871, v2
	v_dual_add_f32 v79, v21, v20 :: v_dual_add_f32 v74, v84, v86
	v_dual_add_f32 v76, v93, v94 :: v_dual_fmamk_f32 v15, v72, 0x3f737871, v7
	s_delay_alu instid0(VALU_DEP_4)
	v_dual_fmac_f32 v2, 0xbf737871, v58 :: v_dual_fmamk_f32 v21, v123, 0xbf737871, v11
	v_fmamk_f32 v14, v59, 0xbf737871, v6
	v_fmac_f32_e32 v6, 0x3f737871, v59
	v_dual_fmac_f32 v7, 0xbf737871, v72 :: v_dual_add_f32 v78, v107, v114
	v_dual_fmamk_f32 v17, v97, 0xbf737871, v9 :: v_dual_add_f32 v62, v16, v18
	v_fmamk_f32 v19, v98, 0x3f737871, v64
	v_dual_fmamk_f32 v16, v80, 0x3f737871, v8 :: v_dual_fmac_f32 v11, 0x3f737871, v123
	v_dual_fmac_f32 v8, 0xbf737871, v80 :: v_dual_add_f32 v57, v57, v65
	v_fmamk_f32 v18, v82, 0xbf737871, v63
	v_fmac_f32_e32 v63, 0x3f737871, v82
	v_fmac_f32_e32 v64, 0xbf737871, v98
	v_add_f32_e32 v83, v83, v170
	v_dual_add_f32 v84, v119, v120 :: v_dual_fmac_f32 v9, 0x3f737871, v97
	v_fmamk_f32 v20, v105, 0x3f737871, v10
	v_fmac_f32_e32 v10, 0xbf737871, v105
	v_fmamk_f32 v22, v106, 0xbf737871, v0
	v_fmac_f32_e32 v0, 0x3f737871, v106
	v_dual_add_f32 v86, v23, v87 :: v_dual_fmac_f32 v13, 0xbf167918, v72
	v_fmamk_f32 v23, v155, 0x3f737871, v1
	v_fmac_f32_e32 v1, 0xbf737871, v155
	v_dual_fmac_f32 v12, 0x3f167918, v59 :: v_dual_fmac_f32 v3, 0x3f167918, v72
	v_dual_fmac_f32 v2, 0xbf167918, v59 :: v_dual_fmac_f32 v15, 0xbf167918, v60
	;; [unrolled: 1-line block ×4, first 2 shown]
	v_dual_add_f32 v58, v61, v73 :: v_dual_fmac_f32 v17, 0xbf167918, v98
	v_dual_fmac_f32 v16, 0x3f167918, v82 :: v_dual_fmac_f32 v11, 0x3f167918, v155
	v_dual_add_f32 v59, v62, v67 :: v_dual_fmac_f32 v8, 0xbf167918, v82
	v_fmac_f32_e32 v19, 0xbf167918, v97
	v_dual_fmac_f32 v64, 0x3f167918, v97 :: v_dual_fmac_f32 v1, 0x3f167918, v123
	v_dual_add_f32 v61, v79, v69 :: v_dual_fmac_f32 v18, 0x3f167918, v80
	v_dual_fmac_f32 v9, 0x3f167918, v98 :: v_dual_add_f32 v60, v71, v81
	v_fmac_f32_e32 v21, 0xbf167918, v155
	v_fmac_f32_e32 v20, 0x3f167918, v106
	v_dual_fmac_f32 v10, 0xbf167918, v106 :: v_dual_fmac_f32 v23, 0xbf167918, v123
	v_fmac_f32_e32 v22, 0x3f167918, v105
	v_fmac_f32_e32 v0, 0xbf167918, v105
	v_dual_add_f32 v62, v86, v89 :: v_dual_fmac_f32 v13, 0x3e9e377a, v68
	v_dual_fmac_f32 v12, 0x3e9e377a, v172 :: v_dual_fmac_f32 v15, 0x3e9e377a, v66
	v_dual_fmac_f32 v2, 0x3e9e377a, v172 :: v_dual_fmac_f32 v7, 0x3e9e377a, v66
	;; [unrolled: 1-line block ×11, first 2 shown]
	v_fmac_f32_e32 v0, 0x3e9e377a, v84
	ds_store_2addr_b64 v166, v[57:58], v[12:13] offset1:5
	ds_store_2addr_b64 v166, v[14:15], v[6:7] offset0:10 offset1:15
	ds_store_b64 v166, v[2:3] offset:160
	ds_store_2addr_b64 v168, v[59:60], v[16:17] offset1:5
	ds_store_2addr_b64 v168, v[18:19], v[63:64] offset0:10 offset1:15
	ds_store_b64 v168, v[8:9] offset:160
	;; [unrolled: 3-line block ×3, first 2 shown]
	v_add_co_u32 v6, s2, s10, v53
	s_delay_alu instid0(VALU_DEP_1)
	v_add_co_ci_u32_e64 v7, null, s11, 0, s2
	s_waitcnt lgkmcnt(0)
	s_barrier
	buffer_gl0_inv
	s_clause 0x2
	global_load_b128 v[0:3], v4, s[10:11] offset:160
	global_load_b128 v[20:23], v4, s[10:11] offset:176
	global_load_b128 v[16:19], v[6:7], off offset:160
	v_add_co_u32 v4, s2, s10, v5
	s_delay_alu instid0(VALU_DEP_1)
	v_add_co_ci_u32_e64 v5, null, s11, 0, s2
	s_clause 0x2
	global_load_b128 v[8:11], v[6:7], off offset:176
	global_load_b128 v[12:15], v[4:5], off offset:160
	;; [unrolled: 1-line block ×3, first 2 shown]
	ds_load_2addr_b64 v[95:98], v158 offset0:10 offset1:235
	v_add_co_u32 v94, null, 0x2a3, v164
	v_add_co_u32 v53, s2, 0xffffff83, v164
	v_add_co_u32 v93, null, 0x384, v164
	s_delay_alu instid0(VALU_DEP_3) | instskip(SKIP_1) | instid1(VALU_DEP_3)
	v_and_b32_e32 v78, 0xffff, v94
	v_add_co_ci_u32_e64 v57, null, 0, -1, s2
	v_and_b32_e32 v79, 0xffff, v93
	v_lshrrev_b32_e32 v60, 16, v49
	v_cndmask_b32_e32 v68, v53, v164, vcc_lo
	s_delay_alu instid0(VALU_DEP_4)
	v_cndmask_b32_e64 v69, v57, 0, vcc_lo
	v_lshrrev_b32_e32 v57, 16, v48
	v_mul_u32_u24_e32 v59, 0x625, v79
	v_sub_nc_u16 v49, v91, v60
	v_and_b32_e32 v52, 0xffff, v52
	ds_load_2addr_b64 v[80:83], v163 offset0:12 offset1:237
	v_sub_nc_u16 v48, v92, v57
	v_lshrrev_b32_e32 v59, 16, v59
	v_lshrrev_b16 v63, 1, v49
	ds_load_2addr_b64 v[84:87], v159 offset0:4 offset1:229
	v_lshrrev_b16 v62, 1, v48
	v_sub_nc_u16 v61, v93, v59
	v_lshlrev_b64 v[48:49], 4, v[68:69]
	v_add_nc_u16 v60, v63, v60
	s_delay_alu instid0(VALU_DEP_4) | instskip(NEXT) | instid1(VALU_DEP_4)
	v_add_nc_u16 v57, v62, v57
	v_lshrrev_b16 v61, 1, v61
	ds_load_2addr_b64 v[62:65], v161 offset0:8 offset1:233
	v_lshrrev_b16 v71, 6, v60
	v_lshrrev_b16 v69, 6, v57
	s_waitcnt vmcnt(4) lgkmcnt(0)
	v_mul_f32_e32 v107, v64, v21
	v_mul_f32_e32 v106, v65, v21
	;; [unrolled: 1-line block ×4, first 2 shown]
	s_waitcnt vmcnt(3)
	v_mul_f32_e32 v119, v85, v17
	v_mul_f32_e32 v120, v84, v17
	s_waitcnt vmcnt(2)
	v_mul_f32_e32 v155, v95, v9
	v_mul_f32_e32 v123, v96, v9
	v_mul_u32_u24_e32 v58, 0x625, v78
	s_waitcnt vmcnt(1)
	v_mul_f32_e32 v175, v62, v15
	v_dual_mul_f32 v156, v83, v11 :: v_dual_fmac_f32 v107, v65, v20
	v_mul_f32_e32 v169, v82, v11
	v_lshrrev_b32_e32 v58, 16, v58
	v_dual_mul_f32 v173, v86, v13 :: v_dual_mul_f32 v174, v63, v15
	v_fmac_f32_e32 v115, v81, v22
	s_waitcnt vmcnt(0)
	v_mul_f32_e32 v177, v97, v5
	v_sub_nc_u16 v53, v94, v58
	v_fma_f32 v64, v64, v20, -v106
	v_fmac_f32_e32 v155, v96, v8
	v_dual_fmac_f32 v120, v85, v16 :: v_dual_fmac_f32 v169, v83, v10
	s_delay_alu instid0(VALU_DEP_4)
	v_lshrrev_b16 v53, 1, v53
	v_fmac_f32_e32 v173, v87, v12
	v_fma_f32 v62, v62, v14, -v174
	v_mul_u32_u24_e32 v78, 0x5d87, v78
	v_sub_f32_e32 v187, v169, v155
	v_add_nc_u16 v53, v53, v58
	v_add_nc_u16 v58, v61, v59
	v_mul_u32_u24_e32 v59, 0x7d, v52
	v_add_co_u32 v52, vcc_lo, s10, v48
	s_delay_alu instid0(VALU_DEP_4)
	v_lshrrev_b16 v72, 6, v53
	v_mul_lo_u16 v48, 0x7d, v69
	v_lshrrev_b16 v73, 6, v58
	v_add_co_ci_u32_e32 v53, vcc_lo, s11, v49, vcc_lo
	v_mul_lo_u16 v49, 0x7d, v71
	v_mul_lo_u16 v57, 0x7d, v72
	v_sub_nc_u16 v74, v92, v48
	v_mul_lo_u16 v58, 0x7d, v73
	v_add_lshl_u32 v165, v59, v50, 3
	v_sub_nc_u16 v75, v91, v49
	v_sub_nc_u16 v76, v94, v57
	v_mad_u16 v48, 0x7d, v51, v55
	v_mad_u16 v49, 0x7d, v54, v56
	v_lshlrev_b16 v50, 4, v74
	v_sub_nc_u16 v77, v93, v58
	v_lshlrev_b16 v54, 4, v75
	v_lshlrev_b16 v55, 4, v76
	v_and_b32_e32 v67, 0xffff, v48
	v_and_b32_e32 v88, 0xffff, v49
	v_and_b32_e32 v89, 0xffff, v50
	ds_load_2addr_b64 v[48:51], v160 offset0:2 offset1:227
	ds_load_2addr_b64 v[58:61], v162 offset0:6 offset1:231
	v_and_b32_e32 v56, 0xffff, v54
	v_and_b32_e32 v57, 0xffff, v55
	ds_load_2addr_b64 v[99:102], v157 offset1:225
	ds_load_b64 v[54:55], v157 offset:25200
	v_lshlrev_b16 v66, 4, v77
	v_lshlrev_b32_e32 v170, 3, v88
	v_mul_f32_e32 v172, v87, v13
	v_sub_f32_e32 v87, v115, v107
	v_sub_f32_e32 v189, v155, v169
	v_and_b32_e32 v103, 0xffff, v66
	v_add_co_u32 v66, s2, s10, v89
	s_waitcnt lgkmcnt(0)
	s_barrier
	buffer_gl0_inv
	v_cmp_lt_u16_e32 vcc_lo, 0x7c, v90
	v_mad_u16 v76, 0x177, v72, v76
	v_mad_u16 v77, 0x177, v73, v77
	v_dual_mul_f32 v88, v51, v1 :: v_dual_lshlrev_b32 v91, 4, v91
	v_dual_mul_f32 v89, v50, v1 :: v_dual_mul_f32 v104, v59, v3
	v_mul_f32_e32 v105, v58, v3
	v_mul_f32_e32 v121, v61, v19
	s_delay_alu instid0(VALU_DEP_3) | instskip(NEXT) | instid1(VALU_DEP_3)
	v_dual_mul_f32 v122, v60, v19 :: v_dual_fmac_f32 v89, v51, v0
	v_dual_mul_f32 v176, v98, v5 :: v_dual_fmac_f32 v105, v59, v2
	v_mul_f32_e32 v178, v55, v7
	v_mul_f32_e32 v179, v54, v7
	v_fma_f32 v50, v50, v0, -v88
	v_fma_f32 v51, v58, v2, -v104
	;; [unrolled: 1-line block ×5, first 2 shown]
	v_fmac_f32_e32 v122, v61, v18
	v_fma_f32 v80, v95, v8, -v123
	v_fma_f32 v60, v86, v12, -v172
	;; [unrolled: 1-line block ×3, first 2 shown]
	v_dual_fmac_f32 v175, v63, v14 :: v_dual_sub_f32 v96, v89, v115
	v_fma_f32 v81, v97, v4, -v176
	v_fmac_f32_e32 v177, v98, v4
	v_fma_f32 v97, v54, v6, -v178
	v_add_f32_e32 v54, v99, v50
	v_dual_fmac_f32 v179, v55, v6 :: v_dual_sub_f32 v98, v105, v107
	v_dual_add_f32 v55, v51, v64 :: v_dual_add_f32 v84, v100, v89
	v_dual_sub_f32 v61, v50, v51 :: v_dual_sub_f32 v82, v51, v50
	v_dual_sub_f32 v63, v88, v64 :: v_dual_sub_f32 v86, v89, v105
	v_dual_add_f32 v65, v50, v88 :: v_dual_add_f32 v114, v89, v115
	v_dual_add_f32 v85, v105, v107 :: v_dual_sub_f32 v104, v50, v88
	v_dual_sub_f32 v83, v64, v88 :: v_dual_sub_f32 v172, v122, v155
	v_dual_add_f32 v121, v101, v58 :: v_dual_sub_f32 v174, v58, v59
	v_dual_add_f32 v123, v59, v80 :: v_dual_add_f32 v178, v58, v95
	v_dual_sub_f32 v180, v59, v58 :: v_dual_add_f32 v183, v122, v155
	v_dual_add_f32 v190, v48, v60 :: v_dual_add_f32 v191, v62, v81
	v_dual_sub_f32 v119, v107, v115 :: v_dual_add_f32 v182, v102, v120
	v_dual_sub_f32 v176, v95, v80 :: v_dual_sub_f32 v181, v80, v95
	v_add_f32_e32 v188, v120, v169
	v_dual_add_f32 v198, v49, v173 :: v_dual_add_f32 v209, v82, v83
	v_dual_sub_f32 v106, v51, v64 :: v_dual_sub_f32 v89, v105, v89
	v_dual_sub_f32 v192, v173, v179 :: v_dual_sub_f32 v193, v60, v62
	v_dual_sub_f32 v194, v97, v81 :: v_dual_add_f32 v207, v54, v51
	v_dual_add_f32 v195, v60, v97 :: v_dual_sub_f32 v196, v62, v60
	v_dual_add_f32 v199, v175, v177 :: v_dual_sub_f32 v200, v173, v175
	v_dual_sub_f32 v201, v179, v177 :: v_dual_sub_f32 v204, v177, v179
	v_dual_sub_f32 v203, v175, v173 :: v_dual_add_f32 v208, v61, v63
	v_add_f32_e32 v173, v173, v179
	v_add_f32_e32 v63, v84, v105
	v_fma_f32 v50, -0.5, v55, v99
	v_fma_f32 v51, -0.5, v85, v100
	;; [unrolled: 1-line block ×4, first 2 shown]
	v_sub_f32_e32 v156, v120, v169
	v_dual_sub_f32 v184, v58, v95 :: v_dual_sub_f32 v185, v59, v80
	v_dual_sub_f32 v205, v60, v97 :: v_dual_add_f32 v82, v121, v59
	v_fma_f32 v58, -0.5, v123, v101
	v_fma_f32 v59, -0.5, v183, v102
	v_add_f32_e32 v85, v190, v62
	v_fma_f32 v101, -0.5, v178, v101
	v_dual_add_f32 v114, v180, v181 :: v_dual_add_f32 v83, v182, v122
	v_fmac_f32_e32 v102, -0.5, v188
	v_dual_add_f32 v84, v198, v175 :: v_dual_add_f32 v123, v200, v201
	v_dual_sub_f32 v202, v175, v177 :: v_dual_add_f32 v105, v86, v87
	v_dual_sub_f32 v206, v62, v81 :: v_dual_add_f32 v99, v89, v119
	v_fma_f32 v60, -0.5, v191, v48
	v_fma_f32 v48, -0.5, v195, v48
	;; [unrolled: 1-line block ×3, first 2 shown]
	v_fmac_f32_e32 v49, -0.5, v173
	v_add_f32_e32 v173, v203, v204
	v_dual_add_f32 v89, v207, v64 :: v_dual_fmamk_f32 v62, v96, 0x3f737871, v50
	v_dual_add_f32 v107, v63, v107 :: v_dual_fmamk_f32 v64, v98, 0xbf737871, v54
	v_fmac_f32_e32 v54, 0x3f737871, v98
	v_dual_fmamk_f32 v63, v104, 0xbf737871, v51 :: v_dual_fmac_f32 v50, 0xbf737871, v96
	v_fmamk_f32 v65, v106, 0x3f737871, v55
	v_fmac_f32_e32 v55, 0xbf737871, v106
	v_dual_fmac_f32 v51, 0x3f737871, v104 :: v_dual_sub_f32 v186, v120, v122
	v_dual_sub_f32 v197, v81, v97 :: v_dual_add_f32 v100, v174, v176
	v_add_f32_e32 v174, v82, v80
	v_fmamk_f32 v80, v156, 0x3f737871, v58
	v_dual_fmac_f32 v58, 0xbf737871, v156 :: v_dual_add_f32 v175, v85, v81
	v_dual_fmamk_f32 v81, v184, 0xbf737871, v59 :: v_dual_sub_f32 v120, v122, v120
	v_dual_add_f32 v155, v83, v155 :: v_dual_fmamk_f32 v82, v172, 0xbf737871, v101
	v_dual_add_f32 v176, v84, v177 :: v_dual_fmac_f32 v101, 0x3f737871, v172
	v_fmamk_f32 v83, v185, 0x3f737871, v102
	v_fmac_f32_e32 v102, 0xbf737871, v185
	v_dual_fmac_f32 v59, 0x3f737871, v184 :: v_dual_fmamk_f32 v84, v192, 0x3f737871, v60
	v_fmac_f32_e32 v60, 0xbf737871, v192
	v_dual_fmamk_f32 v86, v202, 0xbf737871, v48 :: v_dual_fmamk_f32 v85, v205, 0xbf737871, v61
	v_dual_fmac_f32 v48, 0x3f737871, v202 :: v_dual_fmac_f32 v61, 0x3f737871, v205
	v_dual_add_f32 v88, v89, v88 :: v_dual_fmamk_f32 v87, v206, 0x3f737871, v49
	v_fmac_f32_e32 v49, 0xbf737871, v206
	v_dual_fmac_f32 v62, 0x3f167918, v98 :: v_dual_add_f32 v89, v107, v115
	v_dual_fmac_f32 v54, 0xbf167918, v96 :: v_dual_fmac_f32 v63, 0xbf167918, v106
	v_dual_fmac_f32 v50, 0xbf167918, v98 :: v_dual_fmac_f32 v65, 0xbf167918, v104
	;; [unrolled: 1-line block ×4, first 2 shown]
	v_dual_add_f32 v119, v186, v187 :: v_dual_add_f32 v120, v120, v189
	v_dual_add_f32 v95, v174, v95 :: v_dual_fmac_f32 v80, 0x3f167918, v172
	v_dual_fmac_f32 v58, 0xbf167918, v172 :: v_dual_fmac_f32 v81, 0xbf167918, v185
	v_dual_fmac_f32 v101, 0xbf167918, v156 :: v_dual_fmac_f32 v60, 0xbf167918, v202
	v_add_f32_e32 v96, v155, v169
	v_dual_fmac_f32 v82, 0x3f167918, v156 :: v_dual_fmac_f32 v59, 0x3f167918, v185
	v_dual_fmac_f32 v102, 0x3f167918, v184 :: v_dual_add_f32 v97, v175, v97
	v_dual_add_f32 v98, v176, v179 :: v_dual_fmac_f32 v83, 0xbf167918, v184
	v_dual_add_f32 v121, v193, v194 :: v_dual_add_f32 v122, v196, v197
	v_dual_fmac_f32 v86, 0x3f167918, v192 :: v_dual_fmac_f32 v61, 0x3f167918, v206
	v_dual_fmac_f32 v48, 0xbf167918, v192 :: v_dual_fmac_f32 v85, 0xbf167918, v206
	v_fmac_f32_e32 v87, 0xbf167918, v205
	v_fmac_f32_e32 v49, 0x3f167918, v205
	v_dual_fmac_f32 v62, 0x3e9e377a, v208 :: v_dual_fmac_f32 v63, 0x3e9e377a, v105
	v_dual_fmac_f32 v64, 0x3e9e377a, v209 :: v_dual_fmac_f32 v65, 0x3e9e377a, v99
	;; [unrolled: 1-line block ×4, first 2 shown]
	v_dual_fmac_f32 v80, 0x3e9e377a, v100 :: v_dual_lshlrev_b32 v171, 3, v67
	v_dual_fmac_f32 v101, 0x3e9e377a, v114 :: v_dual_fmac_f32 v58, 0x3e9e377a, v100
	v_dual_fmac_f32 v81, 0x3e9e377a, v119 :: v_dual_fmac_f32 v82, 0x3e9e377a, v114
	v_fmac_f32_e32 v59, 0x3e9e377a, v119
	v_dual_fmac_f32 v83, 0x3e9e377a, v120 :: v_dual_fmac_f32 v84, 0x3e9e377a, v121
	v_dual_fmac_f32 v102, 0x3e9e377a, v120 :: v_dual_fmac_f32 v85, 0x3e9e377a, v123
	v_dual_fmac_f32 v60, 0x3e9e377a, v121 :: v_dual_fmac_f32 v61, 0x3e9e377a, v123
	v_dual_fmac_f32 v86, 0x3e9e377a, v122 :: v_dual_fmac_f32 v87, 0x3e9e377a, v173
	v_dual_fmac_f32 v48, 0x3e9e377a, v122 :: v_dual_fmac_f32 v49, 0x3e9e377a, v173
	ds_store_2addr_b64 v165, v[88:89], v[62:63] offset1:25
	ds_store_2addr_b64 v165, v[64:65], v[54:55] offset0:50 offset1:75
	ds_store_b64 v165, v[50:51] offset:800
	ds_store_2addr_b64 v171, v[95:96], v[80:81] offset1:25
	ds_store_2addr_b64 v171, v[82:83], v[101:102] offset0:50 offset1:75
	ds_store_b64 v171, v[58:59] offset:800
	ds_store_2addr_b64 v170, v[97:98], v[84:85] offset1:25
	ds_store_2addr_b64 v170, v[86:87], v[48:49] offset0:50 offset1:75
	ds_store_b64 v170, v[60:61] offset:800
	s_waitcnt lgkmcnt(0)
	s_barrier
	buffer_gl0_inv
	global_load_b128 v[52:55], v[52:53], off offset:960
	v_add_co_ci_u32_e64 v67, null, s11, 0, s2
	v_add_co_u32 v58, s2, s10, v56
	s_delay_alu instid0(VALU_DEP_1) | instskip(SKIP_1) | instid1(VALU_DEP_1)
	v_add_co_ci_u32_e64 v59, null, s11, 0, s2
	v_add_co_u32 v60, s2, s10, v57
	v_add_co_ci_u32_e64 v61, null, s11, 0, s2
	global_load_b128 v[56:59], v[58:59], off offset:960
	v_add_co_u32 v62, s2, s10, v103
	s_delay_alu instid0(VALU_DEP_1)
	v_add_co_ci_u32_e64 v63, null, s11, 0, s2
	s_clause 0x2
	global_load_b128 v[48:51], v[66:67], off offset:960
	global_load_b128 v[64:67], v[60:61], off offset:960
	;; [unrolled: 1-line block ×3, first 2 shown]
	v_mul_u32_u24_e32 v79, 0x5d87, v79
	v_lshrrev_b32_e32 v80, 16, v78
	v_add_co_u32 v83, s2, 0xffffff6a, v164
	v_cndmask_b32_e64 v81, 0, 0x177, vcc_lo
	s_delay_alu instid0(VALU_DEP_4) | instskip(NEXT) | instid1(VALU_DEP_4)
	v_lshrrev_b32_e32 v79, 16, v79
	v_sub_nc_u16 v78, v94, v80
	v_add_co_ci_u32_e64 v84, null, 0, -1, s2
	v_cmp_gt_u16_e32 vcc_lo, 0x96, v90
	s_delay_alu instid0(VALU_DEP_4) | instskip(NEXT) | instid1(VALU_DEP_4)
	v_sub_nc_u16 v82, v93, v79
	v_lshrrev_b16 v85, 1, v78
	v_add_lshl_u32 v169, v68, v81, 3
	v_dual_cndmask_b32 v89, v84, v70 :: v_dual_and_b32 v76, 0xffff, v76
	s_delay_alu instid0(VALU_DEP_4)
	v_lshrrev_b16 v82, 1, v82
	v_cndmask_b32_e32 v88, v83, v92, vcc_lo
	v_add_nc_u16 v70, v85, v80
	v_lshlrev_b32_e32 v78, 4, v164
	ds_load_2addr_b64 v[99:102], v161 offset0:8 offset1:233
	v_add_nc_u16 v82, v82, v79
	v_lshlrev_b64 v[79:80], 4, v[88:89]
	v_lshrrev_b16 v89, 8, v70
	v_add_co_u32 v95, s2, s10, v78
	s_delay_alu instid0(VALU_DEP_4) | instskip(SKIP_1) | instid1(VALU_DEP_4)
	v_lshrrev_b16 v68, 8, v82
	v_add_co_ci_u32_e64 v96, null, s11, 0, s2
	v_mul_lo_u16 v70, 0x177, v89
	s_delay_alu instid0(VALU_DEP_4) | instskip(NEXT) | instid1(VALU_DEP_4)
	v_add_co_u32 v114, vcc_lo, 0x1000, v95
	v_mul_lo_u16 v68, 0x177, v68
	s_delay_alu instid0(VALU_DEP_4) | instskip(NEXT) | instid1(VALU_DEP_4)
	v_add_co_ci_u32_e32 v115, vcc_lo, 0, v96, vcc_lo
	v_sub_nc_u16 v98, v94, v70
	v_add_co_u32 v155, vcc_lo, s10, v79
	s_delay_alu instid0(VALU_DEP_4) | instskip(SKIP_4) | instid1(VALU_DEP_4)
	v_sub_nc_u16 v97, v93, v68
	v_mad_u16 v68, 0x177, v69, v74
	v_mad_u16 v74, 0x177, v71, v75
	v_lshlrev_b16 v83, 4, v98
	v_add_co_ci_u32_e32 v156, vcc_lo, s11, v80, vcc_lo
	v_and_b32_e32 v85, 0xffff, v68
	ds_load_2addr_b64 v[68:71], v159 offset0:4 offset1:229
	v_lshlrev_b16 v84, 4, v97
	v_and_b32_e32 v86, 0xffff, v74
	ds_load_2addr_b64 v[79:82], v162 offset0:6 offset1:231
	v_and_b32_e32 v107, 0xffff, v83
	ds_load_2addr_b64 v[72:75], v158 offset0:10 offset1:235
	v_and_b32_e32 v123, 0xffff, v84
	v_lshlrev_b32_e32 v173, 3, v76
	v_lshlrev_b32_e32 v92, 4, v92
	v_cmp_lt_u16_e32 vcc_lo, 0x95, v90
	v_cndmask_b32_e64 v90, 0, 0x465, vcc_lo
	s_waitcnt vmcnt(4) lgkmcnt(2)
	v_dual_mul_f32 v87, v71, v53 :: v_dual_lshlrev_b32 v172, 3, v86
	v_mul_f32_e32 v176, v70, v53
	v_lshlrev_b32_e32 v175, 3, v85
	ds_load_2addr_b64 v[83:86], v163 offset0:12 offset1:237
	v_and_b32_e32 v77, 0xffff, v77
	s_waitcnt lgkmcnt(1)
	v_mul_f32_e32 v177, v73, v55
	v_mul_f32_e32 v178, v72, v55
	v_fma_f32 v70, v70, v52, -v87
	v_fmac_f32_e32 v176, v71, v52
	s_waitcnt vmcnt(3)
	v_mul_f32_e32 v184, v81, v57
	v_fma_f32 v72, v72, v54, -v177
	s_waitcnt vmcnt(2)
	v_dual_fmac_f32 v178, v73, v54 :: v_dual_mul_f32 v179, v80, v49
	v_mul_f32_e32 v180, v79, v49
	s_waitcnt vmcnt(0)
	v_dual_mul_f32 v181, v75, v51 :: v_dual_mul_f32 v192, v101, v61
	v_dual_mul_f32 v182, v74, v51 :: v_dual_mul_f32 v187, v100, v65
	v_fmac_f32_e32 v184, v82, v56
	v_mul_f32_e32 v188, v99, v65
	s_waitcnt lgkmcnt(0)
	v_mul_f32_e32 v186, v83, v59
	v_lshlrev_b32_e32 v174, 3, v77
	ds_load_2addr_b64 v[103:106], v157 offset1:225
	ds_load_2addr_b64 v[119:122], v160 offset0:2 offset1:227
	ds_load_b64 v[76:77], v157 offset:25200
	v_mul_f32_e32 v183, v82, v57
	v_dual_mul_f32 v185, v84, v59 :: v_dual_fmac_f32 v182, v75, v50
	v_dual_mul_f32 v189, v86, v67 :: v_dual_fmac_f32 v180, v80, v48
	v_dual_mul_f32 v190, v85, v67 :: v_dual_mul_f32 v191, v102, v61
	v_fma_f32 v73, v74, v50, -v181
	v_fma_f32 v74, v79, v48, -v179
	;; [unrolled: 1-line block ×3, first 2 shown]
	v_fmac_f32_e32 v186, v84, v58
	v_fma_f32 v71, v99, v64, -v187
	v_fmac_f32_e32 v188, v100, v64
	v_fma_f32 v80, v101, v60, -v191
	s_delay_alu instid0(VALU_DEP_4)
	v_dual_fmac_f32 v192, v102, v60 :: v_dual_sub_f32 v179, v184, v186
	s_waitcnt lgkmcnt(2)
	v_dual_add_f32 v84, v176, v178 :: v_dual_add_f32 v101, v106, v180
	v_add_f32_e32 v99, v74, v73
	s_waitcnt lgkmcnt(0)
	v_mul_f32_e32 v193, v77, v63
	v_mul_f32_e32 v194, v76, v63
	v_fma_f32 v75, v81, v56, -v183
	v_fma_f32 v81, v85, v66, -v189
	v_fmac_f32_e32 v190, v86, v66
	v_fma_f32 v83, v76, v62, -v193
	v_dual_fmac_f32 v194, v77, v62 :: v_dual_add_f32 v77, v70, v72
	v_dual_add_f32 v76, v103, v70 :: v_dual_sub_f32 v87, v70, v72
	v_sub_f32_e32 v86, v176, v178
	v_add_f32_e32 v85, v105, v74
	v_dual_add_f32 v102, v180, v182 :: v_dual_add_f32 v189, v122, v188
	v_dual_add_f32 v82, v104, v176 :: v_dual_sub_f32 v183, v75, v79
	v_dual_sub_f32 v176, v74, v73 :: v_dual_add_f32 v181, v184, v186
	v_add_f32_e32 v177, v75, v79
	v_dual_add_f32 v74, v119, v75 :: v_dual_sub_f32 v187, v188, v190
	v_dual_sub_f32 v100, v180, v182 :: v_dual_add_f32 v185, v71, v81
	v_dual_add_f32 v180, v120, v184 :: v_dual_sub_f32 v191, v71, v81
	v_dual_add_f32 v184, v121, v71 :: v_dual_add_f32 v193, v68, v80
	v_dual_add_f32 v188, v188, v190 :: v_dual_add_f32 v197, v69, v192
	v_add_f32_e32 v195, v80, v83
	v_sub_f32_e32 v196, v192, v194
	v_add_f32_e32 v70, v76, v72
	v_fma_f32 v76, -0.5, v77, v103
	v_add_f32_e32 v192, v192, v194
	v_fma_f32 v77, -0.5, v84, v104
	v_fma_f32 v105, -0.5, v99, v105
	v_dual_fmac_f32 v106, -0.5, v102 :: v_dual_add_f32 v81, v184, v81
	v_dual_sub_f32 v198, v80, v83 :: v_dual_add_f32 v71, v82, v178
	v_dual_add_f32 v74, v74, v79 :: v_dual_add_f32 v75, v180, v186
	v_fma_f32 v79, -0.5, v177, v119
	v_fma_f32 v80, -0.5, v181, v120
	v_add_f32_e32 v72, v85, v73
	v_fma_f32 v121, -0.5, v185, v121
	v_fmac_f32_e32 v122, -0.5, v188
	v_fma_f32 v68, -0.5, v195, v68
	v_dual_fmamk_f32 v85, v86, 0x3f5db3d7, v76 :: v_dual_add_f32 v82, v189, v190
	v_dual_fmac_f32 v69, -0.5, v192 :: v_dual_fmac_f32 v76, 0xbf5db3d7, v86
	v_fmamk_f32 v86, v87, 0xbf5db3d7, v77
	v_fmac_f32_e32 v77, 0x3f5db3d7, v87
	v_add_f32_e32 v73, v101, v182
	v_dual_add_f32 v84, v197, v194 :: v_dual_fmamk_f32 v99, v100, 0x3f5db3d7, v105
	v_dual_fmac_f32 v105, 0xbf5db3d7, v100 :: v_dual_fmamk_f32 v100, v176, 0xbf5db3d7, v106
	v_dual_fmac_f32 v106, 0x3f5db3d7, v176 :: v_dual_fmamk_f32 v101, v179, 0x3f5db3d7, v79
	v_dual_add_f32 v83, v193, v83 :: v_dual_fmamk_f32 v102, v183, 0xbf5db3d7, v80
	v_dual_fmac_f32 v80, 0x3f5db3d7, v183 :: v_dual_fmamk_f32 v103, v187, 0x3f5db3d7, v121
	s_barrier
	buffer_gl0_inv
	v_fmac_f32_e32 v79, 0xbf5db3d7, v179
	v_dual_fmac_f32 v121, 0xbf5db3d7, v187 :: v_dual_fmamk_f32 v104, v191, 0xbf5db3d7, v122
	v_fmac_f32_e32 v122, 0x3f5db3d7, v191
	v_fmamk_f32 v119, v196, 0x3f5db3d7, v68
	v_dual_fmac_f32 v68, 0xbf5db3d7, v196 :: v_dual_lshlrev_b32 v187, 4, v93
	v_fmamk_f32 v120, v198, 0xbf5db3d7, v69
	v_fmac_f32_e32 v69, 0x3f5db3d7, v198
	ds_store_2addr_b64 v169, v[70:71], v[85:86] offset1:125
	ds_store_b64 v169, v[76:77] offset:2000
	ds_store_2addr_b64 v175, v[72:73], v[99:100] offset1:125
	ds_store_b64 v175, v[105:106] offset:2000
	ds_store_2addr_b64 v172, v[74:75], v[101:102] offset1:125
	ds_store_b64 v172, v[79:80] offset:2000
	ds_store_2addr_b64 v173, v[81:82], v[103:104] offset1:125
	ds_store_b64 v173, v[121:122] offset:2000
	ds_store_2addr_b64 v174, v[83:84], v[119:120] offset1:125
	ds_store_b64 v174, v[68:69] offset:2000
	s_waitcnt lgkmcnt(0)
	s_barrier
	buffer_gl0_inv
	s_clause 0x1
	global_load_b128 v[84:87], v78, s[10:11] offset:2960
	global_load_b128 v[80:83], v[155:156], off offset:2960
	v_add_co_u32 v68, s2, s10, v107
	s_delay_alu instid0(VALU_DEP_1) | instskip(SKIP_1) | instid1(VALU_DEP_1)
	v_add_co_ci_u32_e64 v69, null, s11, 0, s2
	v_add_co_u32 v70, s2, s10, v123
	v_add_co_ci_u32_e64 v71, null, s11, 0, s2
	s_clause 0x2
	global_load_b128 v[72:75], v[114:115], off offset:64
	global_load_b128 v[76:79], v[68:69], off offset:2960
	;; [unrolled: 1-line block ×3, first 2 shown]
	v_add_co_u32 v92, s2, s10, v92
	v_add_co_u32 v114, vcc_lo, 0x2000, v95
	v_add_lshl_u32 v176, v88, v90, 3
	v_add_co_ci_u32_e64 v93, null, s11, 0, s2
	v_add_co_ci_u32_e32 v115, vcc_lo, 0, v96, vcc_lo
	v_add_co_u32 v100, s2, s10, v91
	v_mad_u16 v96, 0x465, v89, v98
	ds_load_2addr_b64 v[88:91], v158 offset0:10 offset1:235
	v_add_co_ci_u32_e64 v101, null, s11, 0, s2
	v_add_co_u32 v155, vcc_lo, 0x2000, v92
	v_add_co_ci_u32_e32 v156, vcc_lo, 0, v93, vcc_lo
	v_and_b32_e32 v104, 0xffff, v97
	v_and_b32_e32 v105, 0xffff, v96
	v_add_co_u32 v183, vcc_lo, 0x2000, v100
	v_lshlrev_b32_e32 v123, 4, v94
	ds_load_2addr_b64 v[92:95], v162 offset0:6 offset1:231
	ds_load_2addr_b64 v[96:99], v163 offset0:12 offset1:237
	v_add_co_ci_u32_e32 v184, vcc_lo, 0, v101, vcc_lo
	ds_load_2addr_b64 v[100:103], v161 offset0:8 offset1:233
	s_waitcnt vmcnt(4) lgkmcnt(3)
	v_mul_f32_e32 v188, v89, v87
	s_waitcnt vmcnt(3)
	v_dual_mul_f32 v191, v91, v83 :: v_dual_lshlrev_b32 v178, 3, v105
	v_mul_f32_e32 v189, v88, v87
	v_lshlrev_b32_e32 v177, 3, v104
	ds_load_2addr_b64 v[104:107], v159 offset0:4 offset1:229
	ds_load_b64 v[185:186], v157 offset:25200
	ds_load_2addr_b64 v[119:122], v157 offset1:225
	ds_load_2addr_b64 v[179:182], v160 offset0:2 offset1:227
	s_waitcnt lgkmcnt(6)
	v_dual_mul_f32 v192, v90, v83 :: v_dual_mul_f32 v193, v92, v81
	v_mul_f32_e32 v190, v93, v81
	v_fma_f32 v88, v88, v86, -v188
	s_waitcnt vmcnt(2) lgkmcnt(5)
	v_dual_mul_f32 v197, v96, v75 :: v_dual_mul_f32 v194, v95, v73
	s_waitcnt vmcnt(1) lgkmcnt(4)
	v_dual_mul_f32 v200, v98, v79 :: v_dual_mul_f32 v201, v100, v77
	s_waitcnt vmcnt(0)
	v_mul_f32_e32 v203, v102, v69
	v_dual_mul_f32 v195, v94, v73 :: v_dual_mul_f32 v196, v97, v75
	v_dual_mul_f32 v198, v101, v77 :: v_dual_mul_f32 v199, v99, v79
	v_dual_mul_f32 v202, v103, v69 :: v_dual_fmac_f32 v189, v89, v86
	v_dual_fmac_f32 v192, v91, v82 :: v_dual_fmac_f32 v201, v101, v76
	s_waitcnt lgkmcnt(3)
	v_dual_mul_f32 v204, v106, v85 :: v_dual_fmac_f32 v193, v93, v80
	s_waitcnt lgkmcnt(2)
	v_dual_mul_f32 v206, v185, v71 :: v_dual_mul_f32 v207, v107, v85
	v_mul_f32_e32 v205, v186, v71
	v_fma_f32 v188, v90, v82, -v191
	v_fma_f32 v90, v94, v72, -v194
	s_delay_alu instid0(VALU_DEP_4) | instskip(SKIP_4) | instid1(VALU_DEP_4)
	v_fmac_f32_e32 v206, v186, v70
	v_dual_fmac_f32 v197, v97, v74 :: v_dual_fmac_f32 v204, v107, v84
	v_fmac_f32_e32 v200, v99, v78
	v_fma_f32 v93, v106, v84, -v207
	v_fma_f32 v89, v92, v80, -v190
	v_dual_fmac_f32 v195, v95, v72 :: v_dual_sub_f32 v106, v204, v189
	v_fma_f32 v94, v96, v74, -v196
	v_fma_f32 v96, v98, v78, -v199
	;; [unrolled: 1-line block ×4, first 2 shown]
	s_waitcnt lgkmcnt(1)
	v_dual_fmac_f32 v203, v103, v68 :: v_dual_add_f32 v102, v121, v89
	v_fma_f32 v98, v185, v70, -v205
	s_waitcnt lgkmcnt(0)
	v_dual_add_f32 v101, v193, v192 :: v_dual_add_f32 v198, v182, v201
	v_add_f32_e32 v95, v120, v204
	v_dual_add_f32 v97, v204, v189 :: v_dual_add_f32 v100, v93, v88
	v_dual_add_f32 v99, v119, v93 :: v_dual_sub_f32 v186, v89, v188
	v_dual_sub_f32 v107, v93, v88 :: v_dual_add_f32 v190, v180, v195
	v_dual_add_f32 v93, v122, v193 :: v_dual_add_f32 v194, v179, v90
	v_sub_f32_e32 v199, v201, v200
	v_dual_add_f32 v201, v201, v200 :: v_dual_fmac_f32 v122, -0.5, v101
	v_dual_add_f32 v103, v89, v188 :: v_dual_sub_f32 v208, v203, v206
	v_dual_sub_f32 v185, v193, v192 :: v_dual_sub_f32 v196, v90, v94
	v_dual_sub_f32 v191, v195, v197 :: v_dual_add_f32 v202, v181, v91
	v_dual_add_f32 v193, v195, v197 :: v_dual_add_f32 v210, v92, v98
	v_dual_add_f32 v195, v90, v94 :: v_dual_add_f32 v204, v91, v96
	;; [unrolled: 1-line block ×3, first 2 shown]
	v_add_f32_e32 v203, v203, v206
	v_dual_add_f32 v209, v104, v92 :: v_dual_fmac_f32 v182, -0.5, v201
	v_sub_f32_e32 v205, v91, v96
	v_fma_f32 v90, -0.5, v100, v119
	v_fma_f32 v91, -0.5, v97, v120
	v_fma_f32 v121, -0.5, v103, v121
	v_dual_sub_f32 v211, v92, v98 :: v_dual_add_f32 v96, v202, v96
	v_dual_add_f32 v89, v95, v189 :: v_dual_add_f32 v92, v102, v188
	v_fmamk_f32 v102, v106, 0x3f5db3d7, v90
	v_add_f32_e32 v98, v209, v98
	v_fma_f32 v100, -0.5, v195, v179
	v_fma_f32 v101, -0.5, v193, v180
	;; [unrolled: 1-line block ×4, first 2 shown]
	v_dual_fmac_f32 v105, -0.5, v203 :: v_dual_fmamk_f32 v180, v205, 0xbf5db3d7, v182
	v_fmamk_f32 v103, v107, 0xbf5db3d7, v91
	v_dual_add_f32 v93, v93, v192 :: v_dual_fmac_f32 v90, 0xbf5db3d7, v106
	v_dual_fmac_f32 v91, 0x3f5db3d7, v107 :: v_dual_fmac_f32 v182, 0x3f5db3d7, v205
	v_dual_add_f32 v95, v190, v197 :: v_dual_fmamk_f32 v106, v185, 0x3f5db3d7, v121
	v_dual_fmamk_f32 v107, v186, 0xbf5db3d7, v122 :: v_dual_fmamk_f32 v120, v196, 0xbf5db3d7, v101
	s_barrier
	buffer_gl0_inv
	v_add_f32_e32 v94, v194, v94
	v_dual_add_f32 v97, v198, v200 :: v_dual_fmac_f32 v122, 0x3f5db3d7, v186
	v_add_f32_e32 v99, v207, v206
	v_fmac_f32_e32 v121, 0xbf5db3d7, v185
	v_fmamk_f32 v119, v191, 0x3f5db3d7, v100
	v_fmac_f32_e32 v100, 0xbf5db3d7, v191
	v_fmac_f32_e32 v101, 0x3f5db3d7, v196
	v_fmamk_f32 v179, v199, 0x3f5db3d7, v181
	v_fmac_f32_e32 v181, 0xbf5db3d7, v199
	v_fmamk_f32 v185, v208, 0x3f5db3d7, v104
	;; [unrolled: 2-line block ×3, first 2 shown]
	v_fmac_f32_e32 v105, 0x3f5db3d7, v211
	ds_store_b64 v157, v[88:89]
	ds_store_b64 v157, v[102:103] offset:3000
	ds_store_b64 v157, v[90:91] offset:6000
	ds_store_b64 v176, v[92:93]
	ds_store_b64 v176, v[106:107] offset:3000
	ds_store_b64 v176, v[121:122] offset:6000
	;; [unrolled: 1-line block ×5, first 2 shown]
	ds_store_b64 v178, v[96:97]
	ds_store_b64 v178, v[179:180] offset:3000
	ds_store_b64 v178, v[181:182] offset:6000
	;; [unrolled: 1-line block ×5, first 2 shown]
	v_add_co_u32 v96, s2, s10, v123
	s_delay_alu instid0(VALU_DEP_1) | instskip(SKIP_1) | instid1(VALU_DEP_3)
	v_add_co_ci_u32_e64 v97, null, s11, 0, s2
	v_add_co_u32 v104, s2, s10, v187
	v_add_co_u32 v96, vcc_lo, 0x2000, v96
	v_add_co_ci_u32_e64 v105, null, s11, 0, s2
	s_delay_alu instid0(VALU_DEP_4) | instskip(NEXT) | instid1(VALU_DEP_4)
	v_add_co_ci_u32_e32 v97, vcc_lo, 0, v97, vcc_lo
	v_add_co_u32 v104, vcc_lo, 0x2000, v104
	s_waitcnt lgkmcnt(0)
	s_barrier
	buffer_gl0_inv
	s_clause 0x2
	global_load_b128 v[100:103], v[114:115], off offset:768
	global_load_b128 v[92:95], v[155:156], off offset:768
	;; [unrolled: 1-line block ×3, first 2 shown]
	v_add_co_ci_u32_e32 v105, vcc_lo, 0, v105, vcc_lo
	global_load_b128 v[96:99], v[96:97], off offset:768
	s_mul_i32 s2, s4, 0x1518
	global_load_b128 v[104:107], v[104:105], off offset:768
	ds_load_2addr_b64 v[119:122], v158 offset0:10 offset1:235
	ds_load_2addr_b64 v[179:182], v162 offset0:6 offset1:231
	;; [unrolled: 1-line block ×4, first 2 shown]
	ds_load_2addr_b64 v[191:194], v157 offset1:225
	ds_load_2addr_b64 v[195:198], v160 offset0:2 offset1:227
	ds_load_2addr_b64 v[199:202], v161 offset0:8 offset1:233
	ds_load_b64 v[114:115], v157 offset:25200
	s_waitcnt vmcnt(4) lgkmcnt(7)
	v_mul_f32_e32 v123, v120, v103
	s_waitcnt vmcnt(3) lgkmcnt(6)
	v_dual_mul_f32 v155, v119, v103 :: v_dual_mul_f32 v204, v180, v93
	s_waitcnt vmcnt(2) lgkmcnt(4)
	v_dual_mul_f32 v205, v179, v93 :: v_dual_mul_f32 v210, v188, v91
	v_mul_f32_e32 v206, v182, v89
	v_dual_mul_f32 v207, v181, v89 :: v_dual_mul_f32 v156, v122, v95
	v_mul_f32_e32 v208, v185, v101
	v_fma_f32 v119, v119, v102, -v123
	v_fma_f32 v179, v179, v92, -v204
	v_fmac_f32_e32 v205, v180, v92
	v_fma_f32 v180, v181, v88, -v206
	s_waitcnt vmcnt(0) lgkmcnt(1)
	v_mul_f32_e32 v204, v201, v105
	v_mul_f32_e32 v203, v121, v95
	s_waitcnt lgkmcnt(0)
	v_dual_mul_f32 v206, v115, v107 :: v_dual_fmac_f32 v207, v182, v88
	v_dual_mul_f32 v182, v202, v105 :: v_dual_fmac_f32 v155, v120, v102
	v_fma_f32 v120, v121, v94, -v156
	v_dual_mul_f32 v121, v187, v91 :: v_dual_fmac_f32 v208, v186, v100
	v_mul_f32_e32 v209, v186, v101
	v_fmac_f32_e32 v204, v202, v104
	v_fmac_f32_e32 v203, v122, v94
	v_mul_f32_e32 v122, v190, v99
	v_dual_mul_f32 v123, v189, v99 :: v_dual_mul_f32 v156, v200, v97
	v_fma_f32 v186, v114, v106, -v206
	v_dual_add_f32 v202, v194, v205 :: v_dual_fmac_f32 v121, v188, v90
	s_delay_alu instid0(VALU_DEP_4)
	v_fma_f32 v188, v189, v98, -v122
	v_dual_mul_f32 v189, v114, v107 :: v_dual_add_f32 v114, v192, v208
	v_fma_f32 v122, v185, v100, -v209
	v_fma_f32 v185, v199, v96, -v156
	;; [unrolled: 1-line block ×4, first 2 shown]
	v_sub_f32_e32 v209, v179, v120
	v_add_f32_e32 v156, v191, v122
	v_dual_fmac_f32 v123, v190, v98 :: v_dual_sub_f32 v190, v208, v155
	v_mul_f32_e32 v181, v199, v97
	v_dual_add_f32 v199, v208, v155 :: v_dual_add_f32 v208, v179, v120
	v_sub_f32_e32 v201, v122, v119
	v_sub_f32_e32 v210, v180, v187
	s_delay_alu instid0(VALU_DEP_4)
	v_dual_fmac_f32 v181, v200, v96 :: v_dual_add_f32 v200, v122, v119
	v_dual_add_f32 v122, v193, v179 :: v_dual_fmac_f32 v189, v115, v106
	v_sub_f32_e32 v206, v205, v203
	v_add_f32_e32 v205, v205, v203
	v_add_f32_e32 v179, v180, v187
	;; [unrolled: 1-line block ×4, first 2 shown]
	v_dual_add_f32 v156, v196, v207 :: v_dual_add_f32 v119, v122, v120
	v_dual_add_f32 v120, v202, v203 :: v_dual_add_f32 v155, v195, v180
	v_add_f32_e32 v212, v181, v123
	v_add_f32_e32 v180, v184, v204
	;; [unrolled: 1-line block ×3, first 2 shown]
	v_sub_f32_e32 v203, v207, v121
	s_delay_alu instid0(VALU_DEP_4)
	v_dual_add_f32 v207, v198, v181 :: v_dual_fmac_f32 v198, -0.5, v212
	v_dual_add_f32 v122, v156, v121 :: v_dual_add_f32 v121, v155, v187
	v_dual_fmac_f32 v194, -0.5, v205 :: v_dual_sub_f32 v211, v181, v123
	v_sub_f32_e32 v213, v204, v189
	v_add_f32_e32 v204, v204, v189
	v_add_f32_e32 v155, v197, v185
	v_dual_add_f32 v181, v180, v189 :: v_dual_add_f32 v180, v183, v182
	v_dual_add_f32 v156, v207, v123 :: v_dual_add_f32 v123, v185, v188
	v_sub_f32_e32 v207, v185, v188
	v_add_f32_e32 v189, v182, v186
	s_delay_alu instid0(VALU_DEP_4)
	v_add_f32_e32 v180, v180, v186
	v_sub_f32_e32 v182, v182, v186
	v_fma_f32 v185, -0.5, v200, v191
	v_fma_f32 v186, -0.5, v199, v192
	v_fmac_f32_e32 v184, -0.5, v204
	v_add_f32_e32 v155, v155, v188
	v_fma_f32 v188, -0.5, v202, v196
	v_fma_f32 v193, -0.5, v208, v193
	;; [unrolled: 1-line block ×3, first 2 shown]
	v_fmamk_f32 v192, v209, 0xbf5db3d7, v194
	v_fmac_f32_e32 v194, 0x3f5db3d7, v209
	v_fma_f32 v197, -0.5, v123, v197
	v_fmamk_f32 v196, v210, 0xbf5db3d7, v188
	v_fmamk_f32 v200, v207, 0xbf5db3d7, v198
	v_fma_f32 v183, -0.5, v189, v183
	v_dual_fmamk_f32 v189, v190, 0x3f5db3d7, v185 :: v_dual_fmac_f32 v198, 0x3f5db3d7, v207
	v_dual_fmac_f32 v185, 0xbf5db3d7, v190 :: v_dual_fmamk_f32 v202, v182, 0xbf5db3d7, v184
	v_fmamk_f32 v190, v201, 0xbf5db3d7, v186
	v_fmac_f32_e32 v186, 0x3f5db3d7, v201
	v_add_nc_u32_e32 v179, 0x4d00, v157
	v_dual_fmamk_f32 v191, v206, 0x3f5db3d7, v193 :: v_dual_fmac_f32 v184, 0x3f5db3d7, v182
	v_fmac_f32_e32 v193, 0xbf5db3d7, v206
	v_fmamk_f32 v195, v203, 0x3f5db3d7, v187
	v_fmac_f32_e32 v187, 0xbf5db3d7, v203
	v_dual_fmac_f32 v188, 0x3f5db3d7, v210 :: v_dual_fmamk_f32 v199, v211, 0x3f5db3d7, v197
	v_fmac_f32_e32 v197, 0xbf5db3d7, v211
	v_fmamk_f32 v201, v213, 0x3f5db3d7, v183
	v_fmac_f32_e32 v183, 0xbf5db3d7, v213
	ds_store_b64 v157, v[189:190] offset:9000
	ds_store_b64 v157, v[185:186] offset:18000
	ds_store_2addr_b64 v157, v[114:115], v[119:120] offset1:225
	ds_store_2addr_b64 v179, v[193:194], v[187:188] offset0:11 offset1:236
	ds_store_2addr_b64 v162, v[191:192], v[195:196] offset0:6 offset1:231
	;; [unrolled: 1-line block ×3, first 2 shown]
	ds_store_b64 v157, v[197:198] offset:23400
	ds_store_b64 v157, v[180:181] offset:7200
	ds_store_2addr_b64 v161, v[199:200], v[201:202] offset0:8 offset1:233
	ds_store_b64 v157, v[183:184] offset:25200
	s_waitcnt lgkmcnt(0)
	s_barrier
	buffer_gl0_inv
	global_load_b64 v[114:115], v[108:109], off offset:2424
	v_add_co_u32 v108, vcc_lo, 0x6978, v110
	v_add_co_ci_u32_e32 v109, vcc_lo, 0, v111, vcc_lo
	v_add_co_u32 v119, vcc_lo, 0x9000, v110
	v_add_co_ci_u32_e32 v120, vcc_lo, 0, v111, vcc_lo
	global_load_b64 v[155:156], v[108:109], off offset:1800
	v_add_co_u32 v121, vcc_lo, 0xb000, v110
	s_clause 0x1
	global_load_b64 v[184:185], v[119:120], off offset:936
	global_load_b64 v[186:187], v[119:120], off offset:2736
	v_add_co_ci_u32_e32 v122, vcc_lo, 0, v111, vcc_lo
	v_add_co_u32 v119, vcc_lo, 0xc000, v110
	v_add_co_ci_u32_e32 v120, vcc_lo, 0, v111, vcc_lo
	v_add_co_u32 v180, vcc_lo, 0x7000, v110
	s_clause 0x1
	global_load_b64 v[188:189], v[121:122], off offset:3544
	global_load_b64 v[190:191], v[119:120], off offset:1248
	v_add_co_ci_u32_e32 v181, vcc_lo, 0, v111, vcc_lo
	s_clause 0x1
	global_load_b64 v[192:193], v[180:181], off offset:3728
	global_load_b64 v[194:195], v[108:109], off offset:3600
	v_add_co_u32 v108, vcc_lo, 0x8000, v110
	v_add_co_ci_u32_e32 v109, vcc_lo, 0, v111, vcc_lo
	s_clause 0x2
	global_load_b64 v[196:197], v[108:109], off offset:1432
	global_load_b64 v[198:199], v[119:120], off offset:3048
	global_load_b64 v[200:201], v[108:109], off offset:3232
	v_add_co_u32 v108, vcc_lo, 0xa000, v110
	v_add_co_ci_u32_e32 v109, vcc_lo, 0, v111, vcc_lo
	s_clause 0x3
	global_load_b64 v[202:203], v[108:109], off offset:2240
	global_load_b64 v[204:205], v[108:109], off offset:440
	;; [unrolled: 1-line block ×4, first 2 shown]
	ds_load_2addr_b64 v[108:111], v157 offset1:225
	s_waitcnt vmcnt(14) lgkmcnt(0)
	v_mul_f32_e32 v119, v109, v115
	v_mul_f32_e32 v120, v108, v115
	s_delay_alu instid0(VALU_DEP_2) | instskip(NEXT) | instid1(VALU_DEP_2)
	v_fma_f32 v119, v108, v114, -v119
	v_fmac_f32_e32 v120, v109, v114
	s_waitcnt vmcnt(13)
	v_mul_f32_e32 v108, v111, v156
	v_mul_f32_e32 v115, v110, v156
	ds_store_b64 v157, v[119:120]
	ds_load_2addr_b64 v[119:122], v162 offset0:6 offset1:231
	ds_load_2addr_b64 v[180:183], v163 offset0:12 offset1:237
	v_fma_f32 v114, v110, v155, -v108
	v_fmac_f32_e32 v115, v111, v155
	ds_load_2addr_b64 v[108:111], v160 offset0:2 offset1:227
	s_waitcnt vmcnt(12) lgkmcnt(2)
	v_mul_f32_e32 v123, v120, v185
	v_mul_f32_e32 v156, v119, v185
	s_waitcnt vmcnt(11)
	v_mul_f32_e32 v210, v122, v187
	v_mul_f32_e32 v185, v121, v187
	s_waitcnt vmcnt(10) lgkmcnt(1)
	v_mul_f32_e32 v187, v180, v189
	v_fma_f32 v155, v119, v184, -v123
	v_fmac_f32_e32 v156, v120, v184
	v_fma_f32 v184, v121, v186, -v210
	v_fmac_f32_e32 v185, v122, v186
	ds_load_2addr_b64 v[119:122], v159 offset0:4 offset1:229
	s_waitcnt vmcnt(9)
	v_dual_mul_f32 v123, v181, v189 :: v_dual_mul_f32 v210, v183, v191
	v_mul_f32_e32 v189, v182, v191
	v_fmac_f32_e32 v187, v181, v188
	s_waitcnt vmcnt(8) lgkmcnt(1)
	v_mul_f32_e32 v191, v110, v193
	v_fma_f32 v186, v180, v188, -v123
	v_mul_f32_e32 v123, v111, v193
	v_fma_f32 v188, v182, v190, -v210
	v_fmac_f32_e32 v189, v183, v190
	ds_load_2addr_b64 v[180:183], v161 offset0:8 offset1:233
	s_waitcnt vmcnt(7)
	v_mul_f32_e32 v210, v109, v195
	v_mul_f32_e32 v193, v108, v195
	v_fma_f32 v190, v110, v192, -v123
	v_fmac_f32_e32 v191, v111, v192
	s_delay_alu instid0(VALU_DEP_4) | instskip(NEXT) | instid1(VALU_DEP_4)
	v_fma_f32 v192, v108, v194, -v210
	v_fmac_f32_e32 v193, v109, v194
	ds_load_2addr_b64 v[108:111], v158 offset0:10 offset1:235
	s_waitcnt vmcnt(6) lgkmcnt(2)
	v_mul_f32_e32 v123, v120, v197
	v_mul_f32_e32 v195, v119, v197
	s_waitcnt vmcnt(4)
	v_mul_f32_e32 v197, v122, v201
	s_delay_alu instid0(VALU_DEP_3) | instskip(NEXT) | instid1(VALU_DEP_3)
	v_fma_f32 v194, v119, v196, -v123
	v_fmac_f32_e32 v195, v120, v196
	ds_load_b64 v[119:120], v157 offset:25200
	v_fma_f32 v196, v121, v200, -v197
	v_mul_f32_e32 v197, v121, v201
	s_waitcnt vmcnt(2) lgkmcnt(2)
	v_mul_f32_e32 v201, v180, v205
	v_mul_f32_e32 v121, v183, v203
	v_add_nc_u32_e32 v123, 0x1500, v157
	v_dual_fmac_f32 v197, v122, v200 :: v_dual_mul_f32 v200, v181, v205
	s_delay_alu instid0(VALU_DEP_4)
	v_dual_mul_f32 v122, v182, v203 :: v_dual_fmac_f32 v201, v181, v204
	s_waitcnt vmcnt(1) lgkmcnt(1)
	v_mul_f32_e32 v181, v108, v207
	v_fma_f32 v121, v182, v202, -v121
	v_fma_f32 v200, v180, v204, -v200
	v_mul_f32_e32 v180, v109, v207
	v_fmac_f32_e32 v122, v183, v202
	v_fmac_f32_e32 v181, v109, v206
	s_waitcnt vmcnt(0)
	v_mul_f32_e32 v109, v110, v209
	v_add_nc_u32_e32 v202, 0x3f00, v157
	v_fma_f32 v180, v108, v206, -v180
	s_waitcnt lgkmcnt(0)
	v_mul_f32_e32 v182, v120, v199
	v_mul_f32_e32 v183, v119, v199
	;; [unrolled: 1-line block ×3, first 2 shown]
	v_add_nc_u32_e32 v203, 0x700, v157
	v_add_nc_u32_e32 v204, 0x2300, v157
	v_fma_f32 v182, v119, v198, -v182
	v_fmac_f32_e32 v183, v120, v198
	v_fma_f32 v108, v110, v208, -v199
	v_fmac_f32_e32 v109, v111, v208
	ds_store_2addr_b64 v123, v[190:191], v[194:195] offset0:3 offset1:228
	ds_store_2addr_b64 v202, v[121:122], v[180:181] offset0:9 offset1:234
	;; [unrolled: 1-line block ×7, first 2 shown]
	s_waitcnt lgkmcnt(0)
	s_barrier
	buffer_gl0_inv
	ds_load_2addr_b64 v[108:111], v160 offset0:2 offset1:227
	ds_load_2addr_b64 v[119:122], v162 offset0:6 offset1:231
	;; [unrolled: 1-line block ×3, first 2 shown]
	ds_load_2addr_b64 v[112:115], v157 offset1:225
	ds_load_2addr_b64 v[184:187], v159 offset0:4 offset1:229
	ds_load_2addr_b64 v[188:191], v158 offset0:10 offset1:235
	s_waitcnt lgkmcnt(4)
	v_dual_sub_f32 v123, v110, v119 :: v_dual_sub_f32 v194, v119, v110
	s_waitcnt lgkmcnt(2)
	v_dual_add_f32 v155, v112, v110 :: v_dual_add_f32 v156, v113, v111
	s_waitcnt lgkmcnt(0)
	v_sub_f32_e32 v226, v181, v191
	v_dual_add_f32 v192, v114, v184 :: v_dual_add_f32 v193, v115, v185
	v_dual_add_f32 v195, v119, v182 :: v_dual_sub_f32 v224, v186, v180
	v_dual_add_f32 v196, v120, v183 :: v_dual_sub_f32 v197, v111, v120
	v_sub_f32_e32 v198, v120, v111
	v_dual_sub_f32 v199, v120, v183 :: v_dual_sub_f32 v200, v119, v182
	v_dual_add_f32 v201, v121, v188 :: v_dual_sub_f32 v202, v122, v189
	v_dual_sub_f32 v203, v184, v121 :: v_dual_sub_f32 v204, v121, v184
	v_dual_add_f32 v205, v122, v189 :: v_dual_sub_f32 v206, v121, v188
	v_dual_sub_f32 v208, v122, v185 :: v_dual_add_f32 v155, v155, v119
	v_add_f32_e32 v156, v156, v120
	v_add_f32_e32 v192, v192, v121
	v_sub_f32_e32 v220, v181, v187
	v_sub_f32_e32 v207, v185, v122
	v_add_f32_e32 v193, v193, v122
	ds_load_2addr_b64 v[119:122], v163 offset0:12 offset1:237
	v_add_f32_e32 v156, v156, v183
	s_waitcnt lgkmcnt(0)
	v_dual_add_f32 v192, v192, v188 :: v_dual_add_f32 v211, v110, v119
	v_add_f32_e32 v212, v111, v120
	v_dual_sub_f32 v214, v110, v119 :: v_dual_sub_f32 v213, v111, v120
	ds_load_b64 v[110:111], v157 offset:25200
	v_add_f32_e32 v156, v156, v120
	v_dual_sub_f32 v210, v120, v183 :: v_dual_sub_f32 v183, v183, v120
	v_add_f32_e32 v120, v108, v186
	v_add_f32_e32 v192, v192, v121
	v_dual_sub_f32 v216, v121, v188 :: v_dual_add_f32 v217, v184, v121
	v_sub_f32_e32 v188, v188, v121
	v_sub_f32_e32 v218, v184, v121
	v_add_f32_e32 v120, v120, v180
	v_dual_add_f32 v121, v180, v190 :: v_dual_sub_f32 v184, v122, v189
	v_sub_f32_e32 v209, v119, v182
	s_waitcnt lgkmcnt(0)
	s_delay_alu instid0(VALU_DEP_3) | instskip(NEXT) | instid1(VALU_DEP_3)
	v_add_f32_e32 v120, v120, v190
	v_fma_f32 v121, -0.5, v121, v108
	s_barrier
	buffer_gl0_inv
	v_dual_add_f32 v222, v186, v110 :: v_dual_sub_f32 v223, v187, v111
	v_sub_f32_e32 v225, v180, v190
	v_sub_f32_e32 v227, v110, v190
	;; [unrolled: 1-line block ×5, first 2 shown]
	v_dual_sub_f32 v186, v180, v186 :: v_dual_add_f32 v193, v193, v189
	v_add_f32_e32 v185, v185, v122
	v_sub_f32_e32 v189, v189, v122
	v_add_f32_e32 v110, v120, v110
	v_fma_f32 v120, -0.5, v196, v113
	v_add_f32_e32 v193, v193, v122
	v_add_f32_e32 v122, v181, v191
	;; [unrolled: 1-line block ×3, first 2 shown]
	v_dual_add_f32 v155, v155, v182 :: v_dual_sub_f32 v182, v182, v119
	v_fma_f32 v108, -0.5, v222, v108
	v_add_f32_e32 v219, v187, v111
	v_sub_f32_e32 v180, v191, v111
	s_delay_alu instid0(VALU_DEP_4) | instskip(SKIP_4) | instid1(VALU_DEP_4)
	v_add_f32_e32 v155, v155, v119
	v_add_f32_e32 v119, v109, v187
	v_fma_f32 v122, -0.5, v122, v109
	v_sub_f32_e32 v187, v187, v181
	v_dual_add_f32 v197, v198, v183 :: v_dual_add_f32 v198, v220, v180
	v_add_f32_e32 v119, v119, v181
	v_fma_f32 v180, -0.5, v201, v114
	v_add_f32_e32 v201, v204, v188
	v_fma_f32 v181, -0.5, v205, v115
	v_add_f32_e32 v204, v207, v184
	v_add_f32_e32 v119, v119, v191
	v_sub_f32_e32 v191, v111, v191
	v_fmac_f32_e32 v115, -0.5, v185
	v_fmamk_f32 v185, v214, 0x3f737871, v120
	s_delay_alu instid0(VALU_DEP_4) | instskip(SKIP_2) | instid1(VALU_DEP_3)
	v_dual_fmac_f32 v120, 0xbf737871, v214 :: v_dual_add_f32 v111, v119, v111
	v_fma_f32 v119, -0.5, v195, v112
	v_dual_add_f32 v205, v208, v189 :: v_dual_add_f32 v208, v186, v190
	v_fmac_f32_e32 v120, 0xbf167918, v200
	v_fma_f32 v114, -0.5, v217, v114
	s_delay_alu instid0(VALU_DEP_4) | instskip(SKIP_2) | instid1(VALU_DEP_4)
	v_fmamk_f32 v184, v213, 0xbf737871, v119
	v_fma_f32 v112, -0.5, v211, v112
	v_fma_f32 v113, -0.5, v212, v113
	v_dual_fmac_f32 v119, 0x3f737871, v213 :: v_dual_fmamk_f32 v188, v202, 0x3f737871, v114
	s_delay_alu instid0(VALU_DEP_4)
	v_fmac_f32_e32 v184, 0xbf167918, v199
	v_fmamk_f32 v186, v215, 0xbf737871, v180
	v_fmac_f32_e32 v180, 0x3f737871, v215
	v_fmamk_f32 v183, v200, 0xbf737871, v113
	v_fmac_f32_e32 v188, 0xbf167918, v215
	v_fmac_f32_e32 v113, 0x3f737871, v200
	;; [unrolled: 1-line block ×3, first 2 shown]
	v_fmamk_f32 v190, v223, 0xbf737871, v121
	v_dual_add_f32 v123, v123, v209 :: v_dual_fmac_f32 v180, 0x3f167918, v202
	v_fmac_f32_e32 v114, 0xbf737871, v202
	v_fmac_f32_e32 v121, 0x3f737871, v223
	s_delay_alu instid0(VALU_DEP_4)
	v_fmac_f32_e32 v190, 0xbf167918, v226
	v_dual_add_f32 v210, v187, v191 :: v_dual_fmamk_f32 v191, v221, 0x3f737871, v122
	v_dual_fmac_f32 v122, 0xbf737871, v221 :: v_dual_add_f32 v209, v194, v182
	v_fmamk_f32 v182, v199, 0x3f737871, v112
	v_fmac_f32_e32 v112, 0xbf737871, v199
	v_fmamk_f32 v194, v226, 0x3f737871, v108
	s_delay_alu instid0(VALU_DEP_4) | instskip(SKIP_4) | instid1(VALU_DEP_4)
	v_fmac_f32_e32 v122, 0xbf167918, v225
	v_fmac_f32_e32 v108, 0xbf737871, v226
	v_fmamk_f32 v187, v218, 0x3f737871, v181
	v_dual_fmac_f32 v112, 0x3f167918, v213 :: v_dual_fmac_f32 v109, -0.5, v219
	v_fmac_f32_e32 v181, 0xbf737871, v218
	v_dual_fmac_f32 v108, 0x3f167918, v223 :: v_dual_add_f32 v203, v203, v216
	v_fmac_f32_e32 v184, 0x3e9e377a, v123
	s_delay_alu instid0(VALU_DEP_4)
	v_fmac_f32_e32 v112, 0x3e9e377a, v209
	v_fmamk_f32 v195, v225, 0xbf737871, v109
	v_fmac_f32_e32 v109, 0x3f737871, v225
	v_fmac_f32_e32 v120, 0x3e9e377a, v196
	v_fmamk_f32 v189, v206, 0xbf737871, v115
	v_fmac_f32_e32 v115, 0x3f737871, v206
	v_fmac_f32_e32 v185, 0x3f167918, v200
	;; [unrolled: 1-line block ×6, first 2 shown]
	v_dual_fmac_f32 v187, 0x3f167918, v206 :: v_dual_fmac_f32 v114, 0x3f167918, v215
	v_fmac_f32_e32 v181, 0xbf167918, v206
	v_fmac_f32_e32 v189, 0x3f167918, v218
	;; [unrolled: 1-line block ×8, first 2 shown]
	v_dual_add_f32 v207, v224, v227 :: v_dual_fmac_f32 v188, 0x3e9e377a, v201
	v_fmac_f32_e32 v195, 0x3f167918, v221
	v_dual_fmac_f32 v185, 0x3e9e377a, v196 :: v_dual_fmac_f32 v114, 0x3e9e377a, v201
	v_fmac_f32_e32 v182, 0x3e9e377a, v209
	s_delay_alu instid0(VALU_DEP_4)
	v_dual_fmac_f32 v183, 0x3e9e377a, v197 :: v_dual_fmac_f32 v190, 0x3e9e377a, v207
	v_dual_fmac_f32 v113, 0x3e9e377a, v197 :: v_dual_fmac_f32 v194, 0x3e9e377a, v208
	;; [unrolled: 1-line block ×3, first 2 shown]
	v_fmac_f32_e32 v187, 0x3e9e377a, v204
	v_dual_fmac_f32 v109, 0x3e9e377a, v198 :: v_dual_fmac_f32 v108, 0x3e9e377a, v208
	v_dual_fmac_f32 v180, 0x3e9e377a, v203 :: v_dual_fmac_f32 v181, 0x3e9e377a, v204
	v_fmac_f32_e32 v189, 0x3e9e377a, v205
	v_fmac_f32_e32 v115, 0x3e9e377a, v205
	;; [unrolled: 1-line block ×5, first 2 shown]
	ds_store_2addr_b64 v116, v[155:156], v[184:185] offset1:1
	ds_store_2addr_b64 v116, v[182:183], v[112:113] offset0:2 offset1:3
	ds_store_b64 v116, v[119:120] offset:32
	ds_store_2addr_b64 v118, v[192:193], v[186:187] offset1:1
	ds_store_2addr_b64 v118, v[188:189], v[114:115] offset0:2 offset1:3
	ds_store_b64 v118, v[180:181] offset:32
	ds_store_b64 v117, v[121:122] offset:32
	ds_store_2addr_b64 v117, v[110:111], v[190:191] offset1:1
	ds_store_2addr_b64 v117, v[194:195], v[108:109] offset0:2 offset1:3
	s_waitcnt lgkmcnt(0)
	s_barrier
	buffer_gl0_inv
	ds_load_2addr_b64 v[108:111], v160 offset0:2 offset1:227
	ds_load_2addr_b64 v[116:119], v162 offset0:6 offset1:231
	;; [unrolled: 1-line block ×6, first 2 shown]
	ds_load_b64 v[192:193], v157 offset:25200
	ds_load_2addr_b64 v[188:191], v157 offset1:225
	v_mad_u64_u32 v[155:156], null, s6, v154, 0
	s_waitcnt lgkmcnt(0)
	s_barrier
	buffer_gl0_inv
	s_mul_hi_u32 s6, s4, 0x1518
	s_delay_alu instid0(SALU_CYCLE_1)
	s_add_i32 s3, s6, s3
	v_mul_f32_e32 v194, v45, v111
	v_mul_f32_e32 v196, v39, v119
	;; [unrolled: 1-line block ×5, first 2 shown]
	v_dual_fmac_f32 v194, v44, v110 :: v_dual_mul_f32 v199, v43, v113
	s_delay_alu instid0(VALU_DEP_4) | instskip(NEXT) | instid1(VALU_DEP_4)
	v_fmac_f32_e32 v202, v32, v184
	v_fma_f32 v32, v32, v185, -v33
	v_dual_mul_f32 v45, v45, v110 :: v_dual_mul_f32 v110, v27, v193
	v_dual_fmac_f32 v198, v40, v122 :: v_dual_mul_f32 v43, v43, v112
	v_fmac_f32_e32 v196, v38, v118
	s_delay_alu instid0(VALU_DEP_3) | instskip(SKIP_4) | instid1(VALU_DEP_4)
	v_dual_mul_f32 v39, v39, v118 :: v_dual_fmac_f32 v110, v26, v192
	v_mul_f32_e32 v197, v37, v121
	v_mul_f32_e32 v37, v37, v120
	v_fma_f32 v44, v44, v111, -v45
	v_mul_f32_e32 v200, v29, v115
	v_dual_add_f32 v206, v198, v110 :: v_dual_fmac_f32 v197, v36, v120
	s_delay_alu instid0(VALU_DEP_4) | instskip(NEXT) | instid1(VALU_DEP_3)
	v_fma_f32 v36, v36, v121, -v37
	v_fmac_f32_e32 v200, v28, v114
	s_delay_alu instid0(VALU_DEP_3) | instskip(NEXT) | instid1(VALU_DEP_3)
	v_dual_add_f32 v118, v190, v197 :: v_dual_sub_f32 v121, v197, v196
	v_add_f32_e32 v120, v191, v36
	s_delay_alu instid0(VALU_DEP_2) | instskip(SKIP_4) | instid1(VALU_DEP_4)
	v_add_f32_e32 v118, v118, v196
	v_fma_f32 v38, v38, v119, -v39
	v_fma_f32 v39, v42, v113, -v43
	v_mul_f32_e32 v41, v41, v122
	v_mul_f32_e32 v195, v47, v117
	v_dual_mul_f32 v201, v31, v181 :: v_dual_sub_f32 v184, v38, v32
	v_add_f32_e32 v118, v118, v202
	s_delay_alu instid0(VALU_DEP_4) | instskip(NEXT) | instid1(VALU_DEP_1)
	v_fma_f32 v37, v40, v123, -v41
	v_dual_add_f32 v119, v196, v202 :: v_dual_sub_f32 v210, v37, v39
	v_fmac_f32_e32 v199, v42, v112
	v_dual_mul_f32 v47, v47, v116 :: v_dual_add_f32 v212, v109, v37
	s_delay_alu instid0(VALU_DEP_2) | instskip(NEXT) | instid1(VALU_DEP_2)
	v_sub_f32_e32 v204, v198, v199
	v_fma_f32 v45, v46, v117, -v47
	s_delay_alu instid0(VALU_DEP_1) | instskip(SKIP_2) | instid1(VALU_DEP_2)
	v_sub_f32_e32 v43, v45, v44
	v_mul_f32_e32 v47, v25, v187
	v_mul_f32_e32 v25, v25, v186
	v_fmac_f32_e32 v47, v24, v186
	v_dual_sub_f32 v186, v36, v38 :: v_dual_fmac_f32 v195, v46, v116
	v_mul_f32_e32 v46, v35, v183
	s_delay_alu instid0(VALU_DEP_4) | instskip(NEXT) | instid1(VALU_DEP_4)
	v_fma_f32 v33, v24, v187, -v25
	v_sub_f32_e32 v205, v110, v47
	v_mul_f32_e32 v27, v27, v192
	v_sub_f32_e32 v187, v38, v36
	v_fmac_f32_e32 v46, v34, v182
	v_dual_add_f32 v24, v188, v194 :: v_dual_add_f32 v25, v195, v200
	s_delay_alu instid0(VALU_DEP_4) | instskip(SKIP_1) | instid1(VALU_DEP_4)
	v_fma_f32 v113, v26, v193, -v27
	v_mul_f32_e32 v35, v35, v182
	v_dual_sub_f32 v122, v46, v202 :: v_dual_mul_f32 v31, v31, v180
	v_dual_sub_f32 v26, v194, v195 :: v_dual_sub_f32 v117, v195, v200
	v_sub_f32_e32 v182, v202, v46
	s_delay_alu instid0(VALU_DEP_3)
	v_add_f32_e32 v121, v121, v122
	v_sub_f32_e32 v122, v37, v113
	v_fma_f32 v112, v34, v183, -v35
	v_dual_add_f32 v185, v38, v32 :: v_dual_add_f32 v38, v120, v38
	v_add_f32_e32 v120, v37, v113
	v_fma_f32 v111, v30, v181, -v31
	s_delay_alu instid0(VALU_DEP_4) | instskip(SKIP_2) | instid1(VALU_DEP_4)
	v_sub_f32_e32 v192, v36, v112
	v_sub_f32_e32 v35, v44, v45
	v_mul_f32_e32 v29, v29, v114
	v_dual_add_f32 v209, v39, v33 :: v_dual_sub_f32 v114, v44, v111
	v_fmac_f32_e32 v201, v30, v180
	v_sub_f32_e32 v181, v196, v202
	s_delay_alu instid0(VALU_DEP_4)
	v_fma_f32 v40, v28, v115, -v29
	v_sub_f32_e32 v29, v195, v194
	v_add_f32_e32 v195, v24, v195
	v_fma_f32 v24, -0.5, v25, v188
	v_sub_f32_e32 v193, v112, v32
	v_add_f32_e32 v34, v45, v40
	v_sub_f32_e32 v41, v111, v40
	v_sub_f32_e32 v115, v45, v40
	v_add_f32_e32 v31, v189, v44
	v_add_f32_e32 v36, v36, v112
	v_fma_f32 v25, -0.5, v34, v189
	v_sub_f32_e32 v34, v39, v37
	v_add_f32_e32 v214, v35, v41
	v_sub_f32_e32 v35, v33, v113
	v_add_f32_e32 v45, v31, v45
	v_fma_f32 v31, -0.5, v209, v109
	v_dual_fmac_f32 v109, -0.5, v120 :: v_dual_add_f32 v42, v44, v111
	s_delay_alu instid0(VALU_DEP_4) | instskip(SKIP_3) | instid1(VALU_DEP_3)
	v_add_f32_e32 v120, v34, v35
	v_dual_sub_f32 v180, v196, v197 :: v_dual_add_f32 v123, v197, v46
	v_sub_f32_e32 v183, v197, v46
	v_dual_add_f32 v197, v108, v198 :: v_dual_sub_f32 v196, v113, v33
	v_add_f32_e32 v180, v180, v182
	v_dual_add_f32 v35, v212, v39 :: v_dual_add_f32 v46, v118, v46
	v_add_f32_e32 v182, v186, v193
	s_delay_alu instid0(VALU_DEP_4) | instskip(NEXT) | instid1(VALU_DEP_3)
	v_dual_add_f32 v193, v210, v196 :: v_dual_sub_f32 v44, v40, v111
	v_add_f32_e32 v196, v35, v33
	v_add_f32_e32 v34, v197, v199
	v_dual_sub_f32 v27, v201, v200 :: v_dual_add_f32 v28, v194, v201
	v_sub_f32_e32 v30, v200, v201
	v_sub_f32_e32 v116, v194, v201
	s_delay_alu instid0(VALU_DEP_2) | instskip(SKIP_1) | instid1(VALU_DEP_2)
	v_dual_sub_f32 v194, v32, v112 :: v_dual_add_f32 v213, v29, v30
	v_fma_f32 v29, -0.5, v185, v191
	v_dual_add_f32 v185, v187, v194 :: v_dual_add_f32 v194, v38, v32
	v_fmamk_f32 v32, v114, 0xbf737871, v24
	v_dual_fmac_f32 v24, 0x3f737871, v114 :: v_dual_add_f32 v211, v26, v27
	v_fma_f32 v26, -0.5, v28, v188
	v_fma_f32 v28, -0.5, v119, v190
	;; [unrolled: 1-line block ×3, first 2 shown]
	v_fmac_f32_e32 v191, -0.5, v36
	v_sub_f32_e32 v119, v39, v33
	v_fma_f32 v27, -0.5, v42, v189
	v_fmamk_f32 v36, v192, 0xbf737871, v28
	v_fmac_f32_e32 v28, 0x3f737871, v192
	v_fmamk_f32 v38, v184, 0x3f737871, v190
	v_fmac_f32_e32 v190, 0xbf737871, v184
	v_dual_add_f32 v188, v43, v44 :: v_dual_fmamk_f32 v33, v116, 0x3f737871, v25
	s_delay_alu instid0(VALU_DEP_4) | instskip(SKIP_1) | instid1(VALU_DEP_4)
	v_fmac_f32_e32 v28, 0x3f167918, v184
	v_add_f32_e32 v44, v195, v200
	v_dual_fmac_f32 v190, 0x3f167918, v192 :: v_dual_add_f32 v195, v34, v47
	v_fmamk_f32 v34, v115, 0x3f737871, v26
	v_add_f32_e32 v203, v199, v47
	v_fmac_f32_e32 v26, 0xbf737871, v115
	v_dual_fmac_f32 v24, 0x3f167918, v115 :: v_dual_sub_f32 v123, v198, v110
	s_delay_alu instid0(VALU_DEP_4) | instskip(NEXT) | instid1(VALU_DEP_4)
	v_fmac_f32_e32 v34, 0xbf167918, v114
	v_fma_f32 v30, -0.5, v203, v108
	v_fma_f32 v108, -0.5, v206, v108
	v_fmac_f32_e32 v26, 0x3f167918, v114
	v_dual_add_f32 v186, v204, v205 :: v_dual_add_f32 v45, v45, v40
	s_delay_alu instid0(VALU_DEP_4) | instskip(NEXT) | instid1(VALU_DEP_4)
	v_fmamk_f32 v40, v122, 0xbf737871, v30
	v_fmamk_f32 v42, v119, 0x3f737871, v108
	v_fmac_f32_e32 v108, 0xbf737871, v119
	v_dual_sub_f32 v189, v199, v47 :: v_dual_fmac_f32 v30, 0x3f737871, v122
	v_fmamk_f32 v35, v117, 0xbf737871, v27
	v_fmac_f32_e32 v27, 0x3f737871, v117
	s_delay_alu instid0(VALU_DEP_4)
	v_fmac_f32_e32 v108, 0x3f167918, v122
	v_fmac_f32_e32 v40, 0xbf167918, v119
	v_dual_fmac_f32 v25, 0xbf737871, v116 :: v_dual_add_f32 v44, v44, v201
	v_fmamk_f32 v37, v183, 0x3f737871, v29
	v_fmac_f32_e32 v29, 0xbf737871, v183
	v_fmac_f32_e32 v34, 0x3e9e377a, v213
	v_fmamk_f32 v39, v181, 0xbf737871, v191
	v_fmac_f32_e32 v191, 0x3f737871, v181
	v_dual_sub_f32 v207, v199, v198 :: v_dual_fmac_f32 v36, 0xbf167918, v184
	v_sub_f32_e32 v208, v47, v110
	v_fmac_f32_e32 v32, 0xbf167918, v115
	v_dual_fmac_f32 v33, 0x3f167918, v117 :: v_dual_fmac_f32 v30, 0x3f167918, v119
	v_fmac_f32_e32 v42, 0xbf167918, v122
	v_fmac_f32_e32 v190, 0x3e9e377a, v180
	v_add_f32_e32 v110, v195, v110
	v_fmac_f32_e32 v24, 0x3e9e377a, v211
	v_fmamk_f32 v41, v123, 0x3f737871, v31
	v_fmac_f32_e32 v31, 0xbf737871, v123
	v_fmac_f32_e32 v40, 0x3e9e377a, v186
	v_fmamk_f32 v43, v189, 0xbf737871, v109
	v_fmac_f32_e32 v109, 0x3f737871, v189
	v_fmac_f32_e32 v35, 0x3f167918, v116
	;; [unrolled: 1-line block ×5, first 2 shown]
	v_dual_fmac_f32 v38, 0xbf167918, v192 :: v_dual_fmac_f32 v29, 0xbf167918, v181
	v_fmac_f32_e32 v39, 0x3f167918, v183
	v_fmac_f32_e32 v191, 0xbf167918, v183
	;; [unrolled: 1-line block ×6, first 2 shown]
	v_dual_fmac_f32 v32, 0x3e9e377a, v211 :: v_dual_add_f32 v187, v207, v208
	v_dual_fmac_f32 v36, 0x3e9e377a, v121 :: v_dual_fmac_f32 v33, 0x3e9e377a, v214
	v_dual_fmac_f32 v30, 0x3e9e377a, v186 :: v_dual_add_f32 v45, v45, v111
	v_dual_fmac_f32 v26, 0x3e9e377a, v213 :: v_dual_fmac_f32 v35, 0x3e9e377a, v188
	v_fmac_f32_e32 v27, 0x3e9e377a, v188
	v_fmac_f32_e32 v25, 0x3e9e377a, v214
	v_dual_add_f32 v47, v194, v112 :: v_dual_fmac_f32 v42, 0x3e9e377a, v187
	v_dual_fmac_f32 v37, 0x3e9e377a, v182 :: v_dual_fmac_f32 v28, 0x3e9e377a, v121
	v_dual_fmac_f32 v38, 0x3e9e377a, v180 :: v_dual_fmac_f32 v29, 0x3e9e377a, v182
	v_fmac_f32_e32 v39, 0x3e9e377a, v185
	v_fmac_f32_e32 v191, 0x3e9e377a, v185
	v_dual_add_f32 v111, v196, v113 :: v_dual_fmac_f32 v108, 0x3e9e377a, v187
	v_fmac_f32_e32 v41, 0x3e9e377a, v193
	v_fmac_f32_e32 v31, 0x3e9e377a, v193
	;; [unrolled: 1-line block ×4, first 2 shown]
	ds_store_2addr_b64 v166, v[44:45], v[32:33] offset1:5
	ds_store_2addr_b64 v166, v[34:35], v[26:27] offset0:10 offset1:15
	ds_store_b64 v166, v[24:25] offset:160
	ds_store_2addr_b64 v168, v[46:47], v[36:37] offset1:5
	ds_store_2addr_b64 v168, v[38:39], v[190:191] offset0:10 offset1:15
	ds_store_b64 v168, v[28:29] offset:160
	;; [unrolled: 3-line block ×3, first 2 shown]
	v_mad_u64_u32 v[28:29], null, s4, v164, 0
	s_waitcnt lgkmcnt(0)
	s_barrier
	buffer_gl0_inv
	ds_load_2addr_b64 v[24:27], v160 offset0:2 offset1:227
	ds_load_2addr_b64 v[33:36], v162 offset0:6 offset1:231
	;; [unrolled: 1-line block ×5, first 2 shown]
	v_dual_mov_b32 v30, v156 :: v_dual_mov_b32 v45, v29
	ds_load_2addr_b64 v[112:115], v158 offset0:10 offset1:235
	v_mad_u64_u32 v[31:32], null, s7, v154, v[30:31]
	v_mad_u64_u32 v[29:30], null, s5, v164, v[45:46]
	ds_load_2addr_b64 v[116:119], v157 offset1:225
	ds_load_b64 v[45:46], v157 offset:25200
	s_waitcnt lgkmcnt(0)
	s_barrier
	buffer_gl0_inv
	s_mov_b32 s6, 0xe70b7421
	s_mov_b32 s7, 0x3f336b06
	v_lshlrev_b64 v[28:29], 3, v[28:29]
	v_mul_f32_e32 v30, v1, v27
	v_mul_f32_e32 v164, v15, v38
	v_mul_f32_e32 v156, v13, v111
	v_mul_f32_e32 v1, v1, v26
	v_mul_f32_e32 v32, v3, v34
	s_delay_alu instid0(VALU_DEP_4) | instskip(NEXT) | instid1(VALU_DEP_4)
	v_dual_mul_f32 v13, v13, v110 :: v_dual_fmac_f32 v164, v14, v37
	v_dual_fmac_f32 v156, v12, v110 :: v_dual_mul_f32 v3, v3, v33
	v_mul_f32_e32 v166, v5, v115
	v_mul_f32_e32 v120, v23, v42
	v_fmac_f32_e32 v30, v0, v26
	s_delay_alu instid0(VALU_DEP_4)
	v_dual_sub_f32 v184, v164, v156 :: v_dual_mul_f32 v167, v7, v46
	v_fma_f32 v0, v0, v27, -v1
	v_fma_f32 v1, v2, v34, -v3
	v_fma_f32 v3, v12, v111, -v13
	v_dual_mul_f32 v23, v23, v41 :: v_dual_fmac_f32 v166, v4, v114
	v_fmac_f32_e32 v167, v6, v45
	v_mul_f32_e32 v47, v21, v40
	v_dual_mul_f32 v21, v21, v39 :: v_dual_mul_f32 v122, v19, v36
	s_delay_alu instid0(VALU_DEP_4)
	v_dual_sub_f32 v188, v164, v166 :: v_dual_mul_f32 v7, v7, v45
	v_fmac_f32_e32 v32, v2, v33
	v_fmac_f32_e32 v120, v22, v41
	v_dual_sub_f32 v182, v167, v166 :: v_dual_fmac_f32 v47, v20, v39
	v_fma_f32 v20, v20, v40, -v21
	v_add_f32_e32 v186, v25, v3
	v_fma_f32 v21, v22, v42, -v23
	v_mul_f32_e32 v121, v17, v109
	v_mul_f32_e32 v19, v19, v35
	v_dual_mul_f32 v123, v9, v113 :: v_dual_fmac_f32 v122, v18, v35
	v_fma_f32 v27, v6, v46, -v7
	v_mul_f32_e32 v17, v17, v108
	v_sub_f32_e32 v26, v1, v20
	v_dual_sub_f32 v6, v30, v32 :: v_dual_sub_f32 v7, v120, v47
	v_mul_f32_e32 v9, v9, v112
	v_dual_sub_f32 v34, v1, v0 :: v_dual_sub_f32 v35, v20, v21
	v_mul_f32_e32 v15, v15, v37
	v_fma_f32 v2, v16, v109, -v17
	v_sub_f32_e32 v22, v0, v21
	v_dual_fmac_f32 v123, v8, v112 :: v_dual_add_f32 v194, v6, v7
	v_fma_f32 v17, v8, v113, -v9
	v_add_f32_e32 v34, v34, v35
	v_fma_f32 v8, v14, v38, -v15
	v_mul_f32_e32 v154, v11, v44
	v_add_f32_e32 v12, v117, v0
	v_sub_f32_e32 v168, v3, v27
	s_delay_alu instid0(VALU_DEP_4)
	v_dual_sub_f32 v14, v0, v1 :: v_dual_sub_f32 v189, v3, v8
	v_fmac_f32_e32 v121, v16, v108
	v_fma_f32 v16, v18, v36, -v19
	v_fmac_f32_e32 v154, v10, v43
	v_add_f32_e32 v18, v0, v21
	v_sub_f32_e32 v192, v8, v3
	v_dual_add_f32 v36, v118, v121 :: v_dual_mul_f32 v11, v11, v43
	v_sub_f32_e32 v43, v122, v121
	v_add_f32_e32 v46, v16, v17
	v_sub_f32_e32 v110, v2, v16
	v_add_f32_e32 v9, v30, v120
	v_fma_f32 v23, v10, v44, -v11
	v_sub_f32_e32 v10, v32, v30
	v_sub_f32_e32 v44, v123, v154
	s_delay_alu instid0(VALU_DEP_3) | instskip(SKIP_3) | instid1(VALU_DEP_3)
	v_dual_mul_f32 v5, v5, v114 :: v_dual_sub_f32 v38, v2, v23
	v_sub_f32_e32 v11, v47, v120
	v_dual_add_f32 v13, v1, v20 :: v_dual_add_f32 v112, v2, v23
	v_sub_f32_e32 v114, v17, v23
	v_add_f32_e32 v195, v10, v11
	v_add_f32_e32 v11, v12, v1
	v_add_f32_e32 v12, v36, v122
	v_add_f32_e32 v36, v43, v44
	v_fma_f32 v19, v4, v115, -v5
	v_add_f32_e32 v115, v24, v156
	v_fma_f32 v1, -0.5, v13, v117
	v_dual_add_f32 v43, v186, v8 :: v_dual_add_f32 v4, v116, v30
	s_delay_alu instid0(VALU_DEP_4) | instskip(SKIP_2) | instid1(VALU_DEP_3)
	v_sub_f32_e32 v190, v27, v19
	v_dual_sub_f32 v180, v8, v19 :: v_dual_add_f32 v45, v119, v2
	v_dual_add_f32 v187, v8, v19 :: v_dual_sub_f32 v30, v30, v120
	v_add_f32_e32 v44, v189, v190
	v_sub_f32_e32 v40, v121, v122
	v_add_f32_e32 v42, v121, v154
	v_sub_f32_e32 v108, v121, v154
	v_add_f32_e32 v121, v164, v166
	v_add_f32_e32 v13, v45, v16
	s_delay_alu instid0(VALU_DEP_2)
	v_fma_f32 v6, -0.5, v121, v24
	v_sub_f32_e32 v39, v16, v17
	v_dual_sub_f32 v113, v16, v2 :: v_dual_add_f32 v16, v115, v164
	v_add_f32_e32 v5, v32, v47
	v_sub_f32_e32 v33, v32, v47
	v_add_f32_e32 v32, v4, v32
	v_fma_f32 v2, -0.5, v9, v116
	v_fmamk_f32 v9, v30, 0x3f737871, v1
	v_fma_f32 v0, -0.5, v5, v116
	v_fma_f32 v5, -0.5, v46, v119
	v_add_f32_e32 v32, v32, v47
	v_fmamk_f32 v10, v26, 0x3f737871, v2
	v_fmac_f32_e32 v2, 0xbf737871, v26
	v_dual_fmamk_f32 v8, v22, 0xbf737871, v0 :: v_dual_sub_f32 v111, v23, v17
	v_dual_fmac_f32 v0, 0x3f737871, v22 :: v_dual_sub_f32 v41, v154, v123
	s_delay_alu instid0(VALU_DEP_3) | instskip(NEXT) | instid1(VALU_DEP_3)
	v_dual_add_f32 v183, v156, v167 :: v_dual_fmac_f32 v2, 0x3f167918, v22
	v_fmac_f32_e32 v8, 0xbf167918, v26
	s_delay_alu instid0(VALU_DEP_3) | instskip(SKIP_1) | instid1(VALU_DEP_4)
	v_dual_fmac_f32 v0, 0x3f167918, v26 :: v_dual_sub_f32 v181, v156, v164
	v_fmac_f32_e32 v10, 0xbf167918, v22
	v_fma_f32 v24, -0.5, v183, v24
	s_delay_alu instid0(VALU_DEP_4) | instskip(SKIP_3) | instid1(VALU_DEP_4)
	v_dual_fmac_f32 v8, 0x3e9e377a, v194 :: v_dual_add_f32 v37, v122, v123
	v_sub_f32_e32 v109, v122, v123
	v_dual_sub_f32 v156, v156, v167 :: v_dual_fmac_f32 v1, 0xbf737871, v30
	v_fmac_f32_e32 v0, 0x3e9e377a, v194
	v_fma_f32 v4, -0.5, v37, v118
	v_fma_f32 v118, -0.5, v42, v118
	v_add_f32_e32 v37, v110, v111
	v_add_f32_e32 v111, v16, v166
	v_fmamk_f32 v16, v168, 0xbf737871, v6
	v_fmac_f32_e32 v6, 0x3f737871, v168
	v_sub_f32_e32 v15, v21, v20
	v_add_f32_e32 v191, v3, v27
	v_fma_f32 v3, -0.5, v18, v117
	v_fmac_f32_e32 v16, 0xbf167918, v180
	v_fmamk_f32 v18, v180, 0x3f737871, v24
	v_add_f32_e32 v196, v14, v15
	v_fmamk_f32 v14, v39, 0x3f737871, v118
	v_fmac_f32_e32 v118, 0xbf737871, v39
	v_dual_fmac_f32 v24, 0xbf737871, v180 :: v_dual_add_f32 v35, v40, v41
	v_fmac_f32_e32 v18, 0xbf167918, v168
	s_delay_alu instid0(VALU_DEP_4) | instskip(NEXT) | instid1(VALU_DEP_4)
	v_fmac_f32_e32 v14, 0xbf167918, v38
	v_fmac_f32_e32 v118, 0x3f167918, v38
	s_delay_alu instid0(VALU_DEP_4) | instskip(SKIP_2) | instid1(VALU_DEP_4)
	v_dual_fmac_f32 v24, 0x3f167918, v168 :: v_dual_add_f32 v47, v12, v123
	v_fmamk_f32 v12, v38, 0xbf737871, v4
	v_fma_f32 v7, -0.5, v187, v25
	v_dual_fmac_f32 v118, 0x3e9e377a, v36 :: v_dual_fmac_f32 v25, -0.5, v191
	v_fmac_f32_e32 v14, 0x3e9e377a, v36
	s_delay_alu instid0(VALU_DEP_4) | instskip(SKIP_3) | instid1(VALU_DEP_4)
	v_dual_fmac_f32 v12, 0xbf167918, v39 :: v_dual_add_f32 v41, v181, v182
	v_dual_fmac_f32 v2, 0x3e9e377a, v195 :: v_dual_fmac_f32 v119, -0.5, v112
	v_fmac_f32_e32 v10, 0x3e9e377a, v195
	v_dual_sub_f32 v193, v19, v27 :: v_dual_fmac_f32 v6, 0x3f167918, v180
	v_fmac_f32_e32 v12, 0x3e9e377a, v35
	v_add_f32_e32 v43, v43, v19
	v_fmamk_f32 v19, v188, 0xbf737871, v25
	v_fmac_f32_e32 v25, 0x3f737871, v188
	v_fmac_f32_e32 v16, 0x3e9e377a, v41
	v_add_f32_e32 v26, v111, v167
	v_dual_add_f32 v46, v11, v20 :: v_dual_fmamk_f32 v11, v33, 0xbf737871, v3
	v_fmac_f32_e32 v3, 0x3f737871, v33
	v_dual_add_f32 v110, v13, v17 :: v_dual_fmamk_f32 v13, v108, 0x3f737871, v5
	v_dual_add_f32 v20, v32, v120 :: v_dual_fmamk_f32 v15, v109, 0xbf737871, v119
	v_fmac_f32_e32 v119, 0x3f737871, v109
	v_dual_sub_f32 v185, v166, v167 :: v_dual_add_f32 v22, v47, v154
	v_fmac_f32_e32 v4, 0x3f737871, v38
	v_fmac_f32_e32 v5, 0xbf737871, v108
	v_fmamk_f32 v17, v156, 0x3f737871, v7
	v_fmac_f32_e32 v7, 0xbf737871, v156
	v_fmac_f32_e32 v19, 0x3f167918, v156
	v_dual_fmac_f32 v25, 0xbf167918, v156 :: v_dual_mov_b32 v156, v31
	v_fmac_f32_e32 v9, 0x3f167918, v33
	v_fmac_f32_e32 v11, 0x3f167918, v30
	;; [unrolled: 1-line block ×4, first 2 shown]
	v_dual_fmac_f32 v13, 0x3f167918, v109 :: v_dual_add_f32 v40, v113, v114
	v_fmac_f32_e32 v15, 0x3f167918, v108
	v_dual_fmac_f32 v119, 0xbf167918, v108 :: v_dual_add_f32 v42, v184, v185
	v_dual_add_f32 v21, v46, v21 :: v_dual_fmac_f32 v4, 0x3f167918, v39
	v_add_f32_e32 v45, v192, v193
	v_fmac_f32_e32 v5, 0xbf167918, v109
	v_fmac_f32_e32 v17, 0x3f167918, v188
	v_fmac_f32_e32 v7, 0xbf167918, v188
	v_fmac_f32_e32 v9, 0x3e9e377a, v196
	v_fmac_f32_e32 v11, 0x3e9e377a, v34
	v_fmac_f32_e32 v3, 0x3e9e377a, v34
	v_fmac_f32_e32 v1, 0x3e9e377a, v196
	v_dual_add_f32 v23, v110, v23 :: v_dual_fmac_f32 v24, 0x3e9e377a, v42
	v_fmac_f32_e32 v13, 0x3e9e377a, v37
	v_fmac_f32_e32 v15, 0x3e9e377a, v40
	v_dual_fmac_f32 v119, 0x3e9e377a, v40 :: v_dual_fmac_f32 v4, 0x3e9e377a, v35
	v_fmac_f32_e32 v5, 0x3e9e377a, v37
	v_dual_fmac_f32 v6, 0x3e9e377a, v41 :: v_dual_add_f32 v27, v43, v27
	v_dual_fmac_f32 v18, 0x3e9e377a, v42 :: v_dual_fmac_f32 v17, 0x3e9e377a, v44
	v_fmac_f32_e32 v7, 0x3e9e377a, v44
	v_fmac_f32_e32 v19, 0x3e9e377a, v45
	;; [unrolled: 1-line block ×3, first 2 shown]
	ds_store_2addr_b64 v165, v[20:21], v[8:9] offset1:25
	ds_store_2addr_b64 v165, v[10:11], v[2:3] offset0:50 offset1:75
	ds_store_b64 v165, v[0:1] offset:800
	ds_store_2addr_b64 v171, v[22:23], v[12:13] offset1:25
	ds_store_2addr_b64 v171, v[14:15], v[118:119] offset0:50 offset1:75
	ds_store_b64 v171, v[4:5] offset:800
	;; [unrolled: 3-line block ×3, first 2 shown]
	s_waitcnt lgkmcnt(0)
	s_barrier
	buffer_gl0_inv
	ds_load_2addr_b64 v[8:11], v162 offset0:6 offset1:231
	ds_load_2addr_b64 v[0:3], v159 offset0:4 offset1:229
	;; [unrolled: 1-line block ×5, first 2 shown]
	ds_load_2addr_b64 v[20:23], v157 offset1:225
	ds_load_2addr_b64 v[24:27], v160 offset0:2 offset1:227
	ds_load_b64 v[32:33], v157 offset:25200
	v_lshlrev_b64 v[30:31], 3, v[155:156]
	s_waitcnt lgkmcnt(0)
	s_barrier
	buffer_gl0_inv
	v_mul_f32_e32 v42, v57, v11
	v_mul_f32_e32 v34, v53, v3
	v_mul_f32_e32 v35, v53, v2
	v_mul_f32_e32 v37, v55, v4
	v_mul_f32_e32 v44, v59, v13
	v_fmac_f32_e32 v42, v56, v10
	v_dual_mul_f32 v36, v55, v5 :: v_dual_mul_f32 v39, v49, v8
	v_mul_f32_e32 v40, v51, v7
	v_mul_f32_e32 v45, v59, v12
	v_dual_mul_f32 v47, v65, v16 :: v_dual_fmac_f32 v34, v52, v2
	v_fma_f32 v2, v52, v3, -v35
	v_fma_f32 v3, v54, v5, -v37
	v_dual_fmac_f32 v44, v58, v12 :: v_dual_add_f32 v37, v24, v42
	v_mul_f32_e32 v41, v51, v6
	v_dual_mul_f32 v51, v67, v14 :: v_dual_mul_f32 v38, v49, v9
	v_mul_f32_e32 v55, v61, v18
	v_mul_f32_e32 v59, v63, v32
	v_fmac_f32_e32 v36, v54, v4
	v_fma_f32 v4, v48, v9, -v39
	v_fmac_f32_e32 v40, v50, v6
	v_fma_f32 v9, v58, v13, -v45
	v_fma_f32 v6, v64, v17, -v47
	;; [unrolled: 1-line block ×3, first 2 shown]
	v_fmac_f32_e32 v38, v48, v8
	v_fma_f32 v8, v60, v19, -v55
	v_dual_mul_f32 v46, v65, v17 :: v_dual_sub_f32 v17, v2, v3
	s_delay_alu instid0(VALU_DEP_4) | instskip(SKIP_1) | instid1(VALU_DEP_3)
	v_dual_sub_f32 v48, v6, v13 :: v_dual_mul_f32 v49, v67, v15
	v_fma_f32 v15, v62, v33, -v59
	v_fmac_f32_e32 v46, v64, v16
	v_add_f32_e32 v16, v22, v38
	v_sub_f32_e32 v35, v38, v40
	v_fmac_f32_e32 v49, v66, v14
	v_sub_f32_e32 v55, v8, v15
	v_mul_f32_e32 v53, v61, v19
	v_dual_add_f32 v19, v38, v40 :: v_dual_add_f32 v58, v8, v15
	v_add_f32_e32 v14, v2, v3
	s_delay_alu instid0(VALU_DEP_3) | instskip(NEXT) | instid1(VALU_DEP_3)
	v_dual_add_f32 v38, v42, v44 :: v_dual_fmac_f32 v53, v60, v18
	v_fma_f32 v22, -0.5, v19, v22
	v_mul_f32_e32 v43, v57, v10
	v_dual_mul_f32 v57, v63, v33 :: v_dual_add_f32 v10, v20, v34
	v_sub_f32_e32 v18, v34, v36
	v_add_f32_e32 v12, v21, v2
	s_delay_alu instid0(VALU_DEP_4)
	v_fma_f32 v5, v56, v11, -v43
	v_add_f32_e32 v56, v1, v8
	v_add_f32_e32 v8, v37, v44
	v_fma_f32 v7, v50, v7, -v41
	v_fmac_f32_e32 v57, v62, v32
	v_add_f32_e32 v11, v34, v36
	v_add_f32_e32 v43, v5, v9
	s_delay_alu instid0(VALU_DEP_4) | instskip(NEXT) | instid1(VALU_DEP_4)
	v_dual_add_f32 v33, v23, v4 :: v_dual_add_f32 v34, v4, v7
	v_add_f32_e32 v54, v53, v57
	v_dual_sub_f32 v32, v4, v7 :: v_dual_sub_f32 v39, v5, v9
	v_add_f32_e32 v41, v25, v5
	v_add_f32_e32 v47, v46, v49
	;; [unrolled: 1-line block ×3, first 2 shown]
	v_fma_f32 v4, -0.5, v11, v20
	v_fma_f32 v5, -0.5, v14, v21
	v_dual_fmac_f32 v23, -0.5, v34 :: v_dual_sub_f32 v42, v42, v44
	v_add_f32_e32 v52, v0, v53
	v_add_f32_e32 v2, v10, v36
	v_fma_f32 v10, -0.5, v38, v24
	v_fma_f32 v11, -0.5, v43, v25
	;; [unrolled: 1-line block ×3, first 2 shown]
	v_add_f32_e32 v45, v26, v46
	v_add_f32_e32 v50, v27, v6
	v_sub_f32_e32 v46, v46, v49
	v_sub_f32_e32 v53, v53, v57
	v_add_f32_e32 v3, v12, v3
	v_add_f32_e32 v6, v16, v40
	v_fma_f32 v26, -0.5, v47, v26
	v_fmac_f32_e32 v27, -0.5, v51
	v_dual_fmac_f32 v1, -0.5, v58 :: v_dual_fmamk_f32 v16, v17, 0xbf5db3d7, v4
	v_dual_fmac_f32 v4, 0x3f5db3d7, v17 :: v_dual_fmamk_f32 v17, v18, 0x3f5db3d7, v5
	v_fmac_f32_e32 v5, 0xbf5db3d7, v18
	v_dual_add_f32 v7, v33, v7 :: v_dual_fmamk_f32 v18, v32, 0xbf5db3d7, v22
	v_dual_fmamk_f32 v19, v35, 0x3f5db3d7, v23 :: v_dual_fmac_f32 v22, 0x3f5db3d7, v32
	v_fmac_f32_e32 v23, 0xbf5db3d7, v35
	v_dual_add_f32 v9, v41, v9 :: v_dual_fmamk_f32 v20, v39, 0xbf5db3d7, v10
	v_fmamk_f32 v21, v42, 0x3f5db3d7, v11
	v_fmamk_f32 v32, v55, 0xbf5db3d7, v0
	v_fmac_f32_e32 v0, 0x3f5db3d7, v55
	v_add_f32_e32 v12, v45, v49
	v_add_f32_e32 v13, v50, v13
	;; [unrolled: 1-line block ×4, first 2 shown]
	v_fmac_f32_e32 v10, 0x3f5db3d7, v39
	v_dual_fmac_f32 v11, 0xbf5db3d7, v42 :: v_dual_fmamk_f32 v24, v48, 0xbf5db3d7, v26
	v_dual_fmac_f32 v26, 0x3f5db3d7, v48 :: v_dual_fmamk_f32 v25, v46, 0x3f5db3d7, v27
	v_fmac_f32_e32 v27, 0xbf5db3d7, v46
	v_fmamk_f32 v33, v53, 0x3f5db3d7, v1
	v_fmac_f32_e32 v1, 0xbf5db3d7, v53
	ds_store_2addr_b64 v169, v[2:3], v[16:17] offset1:125
	ds_store_b64 v169, v[4:5] offset:2000
	ds_store_2addr_b64 v175, v[6:7], v[18:19] offset1:125
	ds_store_b64 v175, v[22:23] offset:2000
	;; [unrolled: 2-line block ×5, first 2 shown]
	v_add_co_u32 v0, vcc_lo, s0, v30
	v_add_co_ci_u32_e32 v1, vcc_lo, s1, v31, vcc_lo
	s_waitcnt lgkmcnt(0)
	s_delay_alu instid0(VALU_DEP_2)
	v_add_co_u32 v0, vcc_lo, v0, v28
	s_barrier
	buffer_gl0_inv
	ds_load_2addr_b64 v[4:7], v159 offset0:4 offset1:229
	ds_load_2addr_b64 v[8:11], v158 offset0:10 offset1:235
	;; [unrolled: 1-line block ×3, first 2 shown]
	v_add_co_ci_u32_e32 v1, vcc_lo, v1, v29, vcc_lo
	ds_load_2addr_b64 v[16:19], v163 offset0:12 offset1:237
	ds_load_2addr_b64 v[20:23], v161 offset0:8 offset1:233
	ds_load_2addr_b64 v[24:27], v157 offset1:225
	ds_load_2addr_b64 v[28:31], v160 offset0:2 offset1:227
	ds_load_b64 v[32:33], v157 offset:25200
	s_waitcnt lgkmcnt(0)
	s_barrier
	buffer_gl0_inv
	v_add_co_u32 v2, vcc_lo, v0, s2
	v_add_co_ci_u32_e32 v3, vcc_lo, s3, v1, vcc_lo
	s_mul_i32 s0, s5, 0xffffb2a8
	s_delay_alu instid0(SALU_CYCLE_1)
	s_sub_i32 s0, s0, s4
	v_mul_f32_e32 v40, v83, v11
	v_mul_f32_e32 v38, v81, v13
	;; [unrolled: 1-line block ×7, first 2 shown]
	v_fmac_f32_e32 v38, v80, v12
	v_fmac_f32_e32 v40, v82, v10
	;; [unrolled: 1-line block ×4, first 2 shown]
	v_dual_mul_f32 v36, v87, v9 :: v_dual_mul_f32 v39, v81, v12
	v_mul_f32_e32 v42, v73, v15
	s_delay_alu instid0(VALU_DEP_3)
	v_dual_add_f32 v54, v4, v50 :: v_dual_add_f32 v55, v50, v52
	v_mul_f32_e32 v44, v75, v17
	v_mul_f32_e32 v45, v75, v16
	;; [unrolled: 1-line block ×3, first 2 shown]
	v_fmac_f32_e32 v46, v76, v20
	v_fma_f32 v4, -0.5, v55, v4
	v_mul_f32_e32 v51, v69, v22
	v_mul_f32_e32 v49, v79, v18
	v_fmac_f32_e32 v48, v78, v18
	v_mul_f32_e32 v35, v85, v6
	v_mul_f32_e32 v37, v87, v8
	v_fma_f32 v12, v68, v23, -v51
	v_dual_add_f32 v23, v38, v40 :: v_dual_fmac_f32 v34, v84, v6
	v_fmac_f32_e32 v36, v86, v8
	v_fma_f32 v8, v80, v13, -v39
	v_fmac_f32_e32 v42, v72, v14
	v_fmac_f32_e32 v44, v74, v16
	v_fma_f32 v13, v74, v17, -v45
	v_fma_f32 v17, v78, v19, -v49
	v_add_f32_e32 v20, v26, v38
	v_fma_f32 v26, -0.5, v23, v26
	v_mul_f32_e32 v41, v83, v10
	v_fma_f32 v10, v76, v21, -v47
	v_add_f32_e32 v47, v46, v48
	v_mul_f32_e32 v43, v73, v14
	v_fma_f32 v6, v84, v7, -v35
	v_fma_f32 v7, v86, v9, -v37
	v_dual_add_f32 v14, v24, v34 :: v_dual_sub_f32 v35, v38, v40
	v_add_f32_e32 v38, v42, v44
	v_add_f32_e32 v45, v30, v46
	v_sub_f32_e32 v49, v10, v17
	v_fma_f32 v30, -0.5, v47, v30
	v_mul_f32_e32 v53, v71, v32
	v_fma_f32 v11, v82, v11, -v41
	v_fma_f32 v9, v72, v15, -v43
	v_dual_sub_f32 v21, v6, v7 :: v_dual_add_f32 v16, v25, v6
	v_dual_add_f32 v18, v6, v7 :: v_dual_add_f32 v37, v28, v42
	v_add_f32_e32 v6, v14, v36
	v_fma_f32 v14, -0.5, v38, v28
	v_fmamk_f32 v28, v49, 0xbf5db3d7, v30
	v_fma_f32 v19, v70, v33, -v53
	v_add_f32_e32 v15, v34, v36
	v_sub_f32_e32 v22, v34, v36
	v_dual_add_f32 v34, v8, v11 :: v_dual_add_f32 v43, v9, v13
	s_delay_alu instid0(VALU_DEP_4)
	v_dual_add_f32 v53, v10, v17 :: v_dual_add_f32 v58, v12, v19
	v_dual_sub_f32 v32, v8, v11 :: v_dual_add_f32 v33, v27, v8
	v_sub_f32_e32 v39, v9, v13
	v_add_f32_e32 v41, v29, v9
	v_fma_f32 v8, -0.5, v15, v24
	v_fma_f32 v9, -0.5, v18, v25
	v_dual_sub_f32 v42, v42, v44 :: v_dual_add_f32 v51, v31, v10
	v_add_f32_e32 v57, v5, v12
	v_fmac_f32_e32 v27, -0.5, v34
	v_fma_f32 v15, -0.5, v43, v29
	v_sub_f32_e32 v46, v46, v48
	v_sub_f32_e32 v56, v12, v19
	v_dual_sub_f32 v50, v50, v52 :: v_dual_add_f32 v7, v16, v7
	v_fmac_f32_e32 v31, -0.5, v53
	v_dual_fmac_f32 v5, -0.5, v58 :: v_dual_add_f32 v10, v20, v40
	v_fmamk_f32 v20, v21, 0xbf5db3d7, v8
	v_dual_fmac_f32 v8, 0x3f5db3d7, v21 :: v_dual_fmamk_f32 v21, v22, 0x3f5db3d7, v9
	v_fmac_f32_e32 v9, 0xbf5db3d7, v22
	v_add_f32_e32 v11, v33, v11
	v_add_f32_e32 v12, v37, v44
	;; [unrolled: 1-line block ×3, first 2 shown]
	v_dual_add_f32 v16, v45, v48 :: v_dual_add_f32 v17, v51, v17
	v_dual_add_f32 v18, v54, v52 :: v_dual_add_f32 v19, v57, v19
	v_fmamk_f32 v22, v32, 0xbf5db3d7, v26
	v_fmamk_f32 v23, v35, 0x3f5db3d7, v27
	;; [unrolled: 1-line block ×3, first 2 shown]
	v_dual_fmac_f32 v14, 0x3f5db3d7, v39 :: v_dual_fmamk_f32 v25, v42, 0x3f5db3d7, v15
	v_fmac_f32_e32 v15, 0xbf5db3d7, v42
	v_fmac_f32_e32 v26, 0x3f5db3d7, v32
	v_fmac_f32_e32 v27, 0xbf5db3d7, v35
	v_dual_fmac_f32 v30, 0x3f5db3d7, v49 :: v_dual_fmamk_f32 v29, v46, 0x3f5db3d7, v31
	v_dual_fmac_f32 v31, 0xbf5db3d7, v46 :: v_dual_fmamk_f32 v32, v56, 0xbf5db3d7, v4
	;; [unrolled: 1-line block ×3, first 2 shown]
	v_fmac_f32_e32 v5, 0xbf5db3d7, v50
	ds_store_b64 v157, v[6:7]
	ds_store_b64 v157, v[20:21] offset:3000
	ds_store_b64 v157, v[8:9] offset:6000
	ds_store_b64 v176, v[10:11]
	ds_store_b64 v176, v[22:23] offset:3000
	ds_store_b64 v176, v[26:27] offset:6000
	;; [unrolled: 1-line block ×5, first 2 shown]
	ds_store_b64 v178, v[16:17]
	ds_store_b64 v178, v[28:29] offset:3000
	ds_store_b64 v178, v[30:31] offset:6000
	;; [unrolled: 1-line block ×5, first 2 shown]
	s_waitcnt lgkmcnt(0)
	s_barrier
	buffer_gl0_inv
	ds_load_2addr_b64 v[10:13], v159 offset0:4 offset1:229
	ds_load_2addr_b64 v[14:17], v158 offset0:10 offset1:235
	;; [unrolled: 1-line block ×5, first 2 shown]
	ds_load_2addr_b64 v[30:33], v157 offset1:225
	ds_load_b64 v[38:39], v157 offset:25200
	ds_load_2addr_b64 v[34:37], v160 offset0:2 offset1:227
	v_add_co_u32 v4, vcc_lo, v2, s2
	v_add_co_ci_u32_e32 v5, vcc_lo, s3, v3, vcc_lo
	s_delay_alu instid0(VALU_DEP_2) | instskip(NEXT) | instid1(VALU_DEP_2)
	v_add_co_u32 v6, vcc_lo, v4, s2
	v_add_co_ci_u32_e32 v7, vcc_lo, s3, v5, vcc_lo
	s_delay_alu instid0(VALU_DEP_2) | instskip(NEXT) | instid1(VALU_DEP_2)
	v_add_co_u32 v8, vcc_lo, v6, s2
	v_add_co_ci_u32_e32 v9, vcc_lo, s3, v7, vcc_lo
	s_waitcnt lgkmcnt(7)
	v_mul_f32_e32 v40, v101, v13
	s_waitcnt lgkmcnt(6)
	v_mul_f32_e32 v42, v103, v15
	;; [unrolled: 2-line block ×4, first 2 shown]
	v_dual_mul_f32 v43, v103, v14 :: v_dual_fmac_f32 v40, v100, v12
	v_mul_f32_e32 v44, v93, v19
	v_mul_f32_e32 v46, v95, v17
	;; [unrolled: 1-line block ×3, first 2 shown]
	v_fmac_f32_e32 v42, v102, v14
	v_fmac_f32_e32 v48, v88, v20
	v_dual_fmac_f32 v50, v90, v22 :: v_dual_mul_f32 v49, v89, v20
	s_waitcnt lgkmcnt(2)
	v_add_f32_e32 v20, v30, v40
	v_mul_f32_e32 v41, v101, v12
	v_mul_f32_e32 v52, v97, v27
	;; [unrolled: 1-line block ×4, first 2 shown]
	v_fmac_f32_e32 v44, v92, v18
	v_fma_f32 v12, v100, v13, -v41
	v_fma_f32 v13, v102, v15, -v43
	v_fmac_f32_e32 v46, v94, v16
	v_fmac_f32_e32 v54, v98, v24
	s_waitcnt lgkmcnt(1)
	v_dual_mul_f32 v57, v105, v28 :: v_dual_mul_f32 v58, v107, v39
	v_fmac_f32_e32 v52, v96, v26
	v_fmac_f32_e32 v56, v104, v28
	v_add_f32_e32 v26, v32, v44
	v_mul_f32_e32 v47, v95, v16
	v_fma_f32 v16, v96, v27, -v53
	v_sub_f32_e32 v27, v12, v13
	v_mul_f32_e32 v45, v93, v18
	v_fma_f32 v18, v104, v29, -v57
	v_add_f32_e32 v29, v44, v46
	v_sub_f32_e32 v41, v44, v46
	v_add_f32_e32 v44, v48, v50
	v_fmac_f32_e32 v58, v106, v38
	v_add_f32_e32 v60, v10, v56
	v_dual_mul_f32 v55, v99, v24 :: v_dual_add_f32 v24, v12, v13
	v_fma_f32 v32, -0.5, v29, v32
	v_mul_f32_e32 v51, v91, v22
	v_add_f32_e32 v22, v31, v12
	v_add_f32_e32 v12, v20, v42
	s_waitcnt lgkmcnt(0)
	v_fma_f32 v20, -0.5, v44, v34
	v_mul_f32_e32 v59, v107, v38
	v_fma_f32 v14, v92, v19, -v45
	v_fma_f32 v19, v90, v23, -v51
	;; [unrolled: 1-line block ×3, first 2 shown]
	v_add_f32_e32 v61, v56, v58
	v_fma_f32 v25, v106, v39, -v59
	v_add_f32_e32 v53, v52, v54
	v_add_f32_e32 v57, v37, v16
	v_sub_f32_e32 v55, v16, v23
	v_fma_f32 v10, -0.5, v61, v10
	v_sub_f32_e32 v62, v18, v25
	v_add_f32_e32 v43, v34, v48
	v_add_f32_e32 v59, v16, v23
	v_dual_add_f32 v63, v11, v18 :: v_dual_add_f32 v64, v18, v25
	v_add_f32_e32 v16, v26, v46
	v_fma_f32 v17, v94, v17, -v47
	v_add_f32_e32 v18, v43, v50
	v_fma_f32 v15, v88, v21, -v49
	v_add_f32_e32 v51, v36, v52
	v_fma_f32 v36, -0.5, v53, v36
	v_add_f32_e32 v21, v40, v42
	v_sub_f32_e32 v28, v40, v42
	v_dual_add_f32 v40, v14, v17 :: v_dual_add_f32 v49, v15, v19
	v_dual_sub_f32 v38, v14, v17 :: v_dual_add_f32 v39, v33, v14
	v_sub_f32_e32 v45, v15, v19
	v_add_f32_e32 v47, v35, v15
	v_fma_f32 v15, -0.5, v24, v31
	v_fmamk_f32 v34, v55, 0xbf5db3d7, v36
	v_fma_f32 v14, -0.5, v21, v30
	v_dual_sub_f32 v48, v48, v50 :: v_dual_fmac_f32 v33, -0.5, v40
	v_fma_f32 v21, -0.5, v49, v35
	v_sub_f32_e32 v52, v52, v54
	v_dual_sub_f32 v56, v56, v58 :: v_dual_fmac_f32 v37, -0.5, v59
	v_dual_fmac_f32 v11, -0.5, v64 :: v_dual_fmamk_f32 v26, v27, 0xbf5db3d7, v14
	v_dual_fmac_f32 v14, 0x3f5db3d7, v27 :: v_dual_fmamk_f32 v27, v28, 0x3f5db3d7, v15
	v_fmac_f32_e32 v15, 0xbf5db3d7, v28
	v_add_f32_e32 v13, v22, v13
	v_fmamk_f32 v28, v38, 0xbf5db3d7, v32
	v_fmac_f32_e32 v32, 0x3f5db3d7, v38
	v_dual_fmamk_f32 v38, v62, 0xbf5db3d7, v10 :: v_dual_add_f32 v17, v39, v17
	v_fmamk_f32 v29, v41, 0x3f5db3d7, v33
	v_fmamk_f32 v30, v45, 0xbf5db3d7, v20
	;; [unrolled: 1-line block ×3, first 2 shown]
	v_add_f32_e32 v19, v47, v19
	v_dual_add_f32 v22, v51, v54 :: v_dual_add_f32 v23, v57, v23
	v_fmac_f32_e32 v33, 0xbf5db3d7, v41
	v_fmac_f32_e32 v20, 0x3f5db3d7, v45
	v_dual_fmac_f32 v21, 0xbf5db3d7, v48 :: v_dual_add_f32 v24, v60, v58
	v_dual_add_f32 v25, v63, v25 :: v_dual_fmac_f32 v36, 0x3f5db3d7, v55
	v_fmamk_f32 v35, v52, 0x3f5db3d7, v37
	v_fmac_f32_e32 v37, 0xbf5db3d7, v52
	v_dual_fmac_f32 v10, 0x3f5db3d7, v62 :: v_dual_fmamk_f32 v39, v56, 0x3f5db3d7, v11
	v_fmac_f32_e32 v11, 0xbf5db3d7, v56
	ds_store_b64 v157, v[26:27] offset:9000
	ds_store_b64 v157, v[14:15] offset:18000
	ds_store_2addr_b64 v157, v[12:13], v[16:17] offset1:225
	ds_store_2addr_b64 v162, v[28:29], v[30:31] offset0:6 offset1:231
	ds_store_2addr_b64 v179, v[32:33], v[20:21] offset0:11 offset1:236
	;; [unrolled: 1-line block ×3, first 2 shown]
	ds_store_b64 v157, v[36:37] offset:23400
	ds_store_b64 v157, v[24:25] offset:7200
	ds_store_2addr_b64 v161, v[34:35], v[38:39] offset0:8 offset1:233
	ds_store_b64 v157, v[10:11] offset:25200
	s_waitcnt lgkmcnt(0)
	s_barrier
	buffer_gl0_inv
	ds_load_2addr_b64 v[12:15], v157 offset1:225
	ds_load_2addr_b64 v[16:19], v160 offset0:2 offset1:227
	ds_load_2addr_b64 v[20:23], v162 offset0:6 offset1:231
	;; [unrolled: 1-line block ×6, first 2 shown]
	ds_load_b64 v[42:43], v157 offset:25200
	v_mad_u64_u32 v[10:11], null, 0xffffb2a8, s4, v[8:9]
	s_delay_alu instid0(VALU_DEP_1)
	v_add_co_u32 v40, vcc_lo, v10, s2
	s_waitcnt lgkmcnt(7)
	v_mul_f32_e32 v44, v125, v13
	s_waitcnt lgkmcnt(6)
	v_dual_mul_f32 v45, v125, v12 :: v_dual_mul_f32 v46, v135, v19
	s_waitcnt lgkmcnt(5)
	v_dual_mul_f32 v47, v135, v18 :: v_dual_mul_f32 v48, v137, v21
	;; [unrolled: 2-line block ×4, first 2 shown]
	v_dual_mul_f32 v53, v133, v28 :: v_dual_mul_f32 v54, v127, v15
	v_dual_mul_f32 v55, v127, v14 :: v_dual_fmac_f32 v44, v124, v12
	v_fma_f32 v45, v124, v13, -v45
	s_waitcnt lgkmcnt(2)
	v_mul_f32_e32 v56, v139, v33
	v_mul_f32_e32 v57, v139, v32
	s_waitcnt lgkmcnt(1)
	v_dual_mul_f32 v61, v147, v36 :: v_dual_mul_f32 v64, v129, v17
	v_dual_mul_f32 v65, v129, v16 :: v_dual_fmac_f32 v46, v134, v18
	v_fma_f32 v18, v134, v19, -v47
	v_mul_f32_e32 v58, v145, v23
	v_dual_mul_f32 v59, v145, v22 :: v_dual_fmac_f32 v48, v136, v20
	v_fma_f32 v47, v136, v21, -v49
	v_mul_f32_e32 v60, v147, v37
	v_mul_f32_e32 v68, v143, v25
	v_dual_mul_f32 v69, v143, v24 :: v_dual_fmac_f32 v50, v130, v26
	v_fma_f32 v26, v130, v27, -v51
	v_mul_f32_e32 v62, v149, v31
	v_dual_mul_f32 v63, v149, v30 :: v_dual_fmac_f32 v52, v132, v28
	v_fma_f32 v49, v132, v29, -v53
	v_mul_f32_e32 v66, v141, v35
	v_mul_f32_e32 v67, v141, v34
	v_fmac_f32_e32 v54, v126, v14
	v_fma_f32 v51, v126, v15, -v55
	v_cvt_f64_f32_e32 v[12:13], v44
	v_cvt_f64_f32_e32 v[14:15], v45
	v_dual_fmac_f32 v64, v128, v16 :: v_dual_add_nc_u32 v11, s0, v11
	v_mul_f32_e32 v70, v151, v39
	v_dual_mul_f32 v71, v151, v38 :: v_dual_fmac_f32 v56, v138, v32
	v_fma_f32 v53, v138, v33, -v57
	v_fma_f32 v57, v146, v37, -v61
	;; [unrolled: 1-line block ×3, first 2 shown]
	v_cvt_f64_f32_e32 v[16:17], v46
	v_cvt_f64_f32_e32 v[18:19], v18
	s_waitcnt lgkmcnt(0)
	v_mul_f32_e32 v72, v153, v43
	v_mul_f32_e32 v73, v153, v42
	v_fmac_f32_e32 v58, v144, v22
	v_fma_f32 v55, v144, v23, -v59
	v_cvt_f64_f32_e32 v[20:21], v48
	v_cvt_f64_f32_e32 v[22:23], v47
	v_fmac_f32_e32 v60, v146, v36
	v_fmac_f32_e32 v68, v142, v24
	v_fma_f32 v65, v142, v25, -v69
	v_cvt_f64_f32_e32 v[24:25], v50
	v_cvt_f64_f32_e32 v[26:27], v26
	v_fmac_f32_e32 v62, v148, v30
	v_fma_f32 v59, v148, v31, -v63
	v_cvt_f64_f32_e32 v[28:29], v52
	v_cvt_f64_f32_e32 v[30:31], v49
	;; [unrolled: 4-line block ×5, first 2 shown]
	v_cvt_f64_f32_e32 v[46:47], v60
	v_cvt_f64_f32_e32 v[48:49], v57
	;; [unrolled: 1-line block ×14, first 2 shown]
	v_mul_f64 v[12:13], v[12:13], s[6:7]
	v_mul_f64 v[14:15], v[14:15], s[6:7]
	v_mul_f64 v[16:17], v[16:17], s[6:7]
	v_mul_f64 v[18:19], v[18:19], s[6:7]
	v_mul_f64 v[20:21], v[20:21], s[6:7]
	v_mul_f64 v[22:23], v[22:23], s[6:7]
	v_mul_f64 v[24:25], v[24:25], s[6:7]
	v_mul_f64 v[26:27], v[26:27], s[6:7]
	v_add_co_ci_u32_e32 v41, vcc_lo, s3, v11, vcc_lo
	v_mul_f64 v[28:29], v[28:29], s[6:7]
	v_mul_f64 v[30:31], v[30:31], s[6:7]
	v_add_co_u32 v74, vcc_lo, v40, s2
	v_mul_f64 v[32:33], v[32:33], s[6:7]
	v_mul_f64 v[34:35], v[34:35], s[6:7]
	v_add_co_ci_u32_e32 v75, vcc_lo, s3, v41, vcc_lo
	v_mul_f64 v[36:37], v[36:37], s[6:7]
	v_mul_f64 v[38:39], v[38:39], s[6:7]
	v_add_co_u32 v76, vcc_lo, v74, s2
	v_mul_f64 v[42:43], v[42:43], s[6:7]
	v_mul_f64 v[44:45], v[44:45], s[6:7]
	;; [unrolled: 1-line block ×16, first 2 shown]
	v_add_co_ci_u32_e32 v77, vcc_lo, s3, v75, vcc_lo
	v_cvt_f32_f64_e32 v12, v[12:13]
	v_cvt_f32_f64_e32 v13, v[14:15]
	;; [unrolled: 1-line block ×6, first 2 shown]
	v_add_co_u32 v78, vcc_lo, v76, s2
	v_cvt_f32_f64_e32 v18, v[24:25]
	v_cvt_f32_f64_e32 v19, v[26:27]
	;; [unrolled: 1-line block ×4, first 2 shown]
	v_add_co_ci_u32_e32 v79, vcc_lo, s3, v77, vcc_lo
	v_cvt_f32_f64_e32 v22, v[32:33]
	v_cvt_f32_f64_e32 v23, v[34:35]
	v_cvt_f32_f64_e32 v24, v[36:37]
	v_cvt_f32_f64_e32 v25, v[38:39]
	v_mad_u64_u32 v[80:81], null, 0xffffb2a8, s4, v[78:79]
	v_cvt_f32_f64_e32 v26, v[42:43]
	v_cvt_f32_f64_e32 v27, v[44:45]
	;; [unrolled: 1-line block ×16, first 2 shown]
	v_add_nc_u32_e32 v81, s0, v81
	v_add_co_u32 v44, vcc_lo, v80, s2
	s_delay_alu instid0(VALU_DEP_2) | instskip(NEXT) | instid1(VALU_DEP_2)
	v_add_co_ci_u32_e32 v45, vcc_lo, s3, v81, vcc_lo
	v_add_co_u32 v46, vcc_lo, v44, s2
	s_delay_alu instid0(VALU_DEP_2) | instskip(NEXT) | instid1(VALU_DEP_2)
	v_add_co_ci_u32_e32 v47, vcc_lo, s3, v45, vcc_lo
	;; [unrolled: 3-line block ×3, first 2 shown]
	v_add_co_u32 v50, vcc_lo, v48, s2
	s_delay_alu instid0(VALU_DEP_2)
	v_add_co_ci_u32_e32 v51, vcc_lo, s3, v49, vcc_lo
	s_clause 0x4
	global_store_b64 v[0:1], v[12:13], off
	global_store_b64 v[2:3], v[14:15], off
	;; [unrolled: 1-line block ×15, first 2 shown]
.LBB0_2:
	s_nop 0
	s_sendmsg sendmsg(MSG_DEALLOC_VGPRS)
	s_endpgm
	.section	.rodata,"a",@progbits
	.p2align	6, 0x0
	.amdhsa_kernel bluestein_single_fwd_len3375_dim1_sp_op_CI_CI
		.amdhsa_group_segment_fixed_size 27000
		.amdhsa_private_segment_fixed_size 0
		.amdhsa_kernarg_size 104
		.amdhsa_user_sgpr_count 15
		.amdhsa_user_sgpr_dispatch_ptr 0
		.amdhsa_user_sgpr_queue_ptr 0
		.amdhsa_user_sgpr_kernarg_segment_ptr 1
		.amdhsa_user_sgpr_dispatch_id 0
		.amdhsa_user_sgpr_private_segment_size 0
		.amdhsa_wavefront_size32 1
		.amdhsa_uses_dynamic_stack 0
		.amdhsa_enable_private_segment 0
		.amdhsa_system_sgpr_workgroup_id_x 1
		.amdhsa_system_sgpr_workgroup_id_y 0
		.amdhsa_system_sgpr_workgroup_id_z 0
		.amdhsa_system_sgpr_workgroup_info 0
		.amdhsa_system_vgpr_workitem_id 0
		.amdhsa_next_free_vgpr 228
		.amdhsa_next_free_sgpr 20
		.amdhsa_reserve_vcc 1
		.amdhsa_float_round_mode_32 0
		.amdhsa_float_round_mode_16_64 0
		.amdhsa_float_denorm_mode_32 3
		.amdhsa_float_denorm_mode_16_64 3
		.amdhsa_dx10_clamp 1
		.amdhsa_ieee_mode 1
		.amdhsa_fp16_overflow 0
		.amdhsa_workgroup_processor_mode 1
		.amdhsa_memory_ordered 1
		.amdhsa_forward_progress 0
		.amdhsa_shared_vgpr_count 0
		.amdhsa_exception_fp_ieee_invalid_op 0
		.amdhsa_exception_fp_denorm_src 0
		.amdhsa_exception_fp_ieee_div_zero 0
		.amdhsa_exception_fp_ieee_overflow 0
		.amdhsa_exception_fp_ieee_underflow 0
		.amdhsa_exception_fp_ieee_inexact 0
		.amdhsa_exception_int_div_zero 0
	.end_amdhsa_kernel
	.text
.Lfunc_end0:
	.size	bluestein_single_fwd_len3375_dim1_sp_op_CI_CI, .Lfunc_end0-bluestein_single_fwd_len3375_dim1_sp_op_CI_CI
                                        ; -- End function
	.section	.AMDGPU.csdata,"",@progbits
; Kernel info:
; codeLenInByte = 18296
; NumSgprs: 22
; NumVgprs: 228
; ScratchSize: 0
; MemoryBound: 0
; FloatMode: 240
; IeeeMode: 1
; LDSByteSize: 27000 bytes/workgroup (compile time only)
; SGPRBlocks: 2
; VGPRBlocks: 28
; NumSGPRsForWavesPerEU: 22
; NumVGPRsForWavesPerEU: 228
; Occupancy: 6
; WaveLimiterHint : 1
; COMPUTE_PGM_RSRC2:SCRATCH_EN: 0
; COMPUTE_PGM_RSRC2:USER_SGPR: 15
; COMPUTE_PGM_RSRC2:TRAP_HANDLER: 0
; COMPUTE_PGM_RSRC2:TGID_X_EN: 1
; COMPUTE_PGM_RSRC2:TGID_Y_EN: 0
; COMPUTE_PGM_RSRC2:TGID_Z_EN: 0
; COMPUTE_PGM_RSRC2:TIDIG_COMP_CNT: 0
	.text
	.p2alignl 7, 3214868480
	.fill 96, 4, 3214868480
	.type	__hip_cuid_aeef1d435a06a770,@object ; @__hip_cuid_aeef1d435a06a770
	.section	.bss,"aw",@nobits
	.globl	__hip_cuid_aeef1d435a06a770
__hip_cuid_aeef1d435a06a770:
	.byte	0                               ; 0x0
	.size	__hip_cuid_aeef1d435a06a770, 1

	.ident	"AMD clang version 19.0.0git (https://github.com/RadeonOpenCompute/llvm-project roc-6.4.0 25133 c7fe45cf4b819c5991fe208aaa96edf142730f1d)"
	.section	".note.GNU-stack","",@progbits
	.addrsig
	.addrsig_sym __hip_cuid_aeef1d435a06a770
	.amdgpu_metadata
---
amdhsa.kernels:
  - .args:
      - .actual_access:  read_only
        .address_space:  global
        .offset:         0
        .size:           8
        .value_kind:     global_buffer
      - .actual_access:  read_only
        .address_space:  global
        .offset:         8
        .size:           8
        .value_kind:     global_buffer
      - .actual_access:  read_only
        .address_space:  global
        .offset:         16
        .size:           8
        .value_kind:     global_buffer
      - .actual_access:  read_only
        .address_space:  global
        .offset:         24
        .size:           8
        .value_kind:     global_buffer
      - .actual_access:  read_only
        .address_space:  global
        .offset:         32
        .size:           8
        .value_kind:     global_buffer
      - .offset:         40
        .size:           8
        .value_kind:     by_value
      - .address_space:  global
        .offset:         48
        .size:           8
        .value_kind:     global_buffer
      - .address_space:  global
        .offset:         56
        .size:           8
        .value_kind:     global_buffer
      - .address_space:  global
        .offset:         64
        .size:           8
        .value_kind:     global_buffer
      - .address_space:  global
        .offset:         72
        .size:           8
        .value_kind:     global_buffer
      - .offset:         80
        .size:           4
        .value_kind:     by_value
      - .address_space:  global
        .offset:         88
        .size:           8
        .value_kind:     global_buffer
      - .address_space:  global
        .offset:         96
        .size:           8
        .value_kind:     global_buffer
    .group_segment_fixed_size: 27000
    .kernarg_segment_align: 8
    .kernarg_segment_size: 104
    .language:       OpenCL C
    .language_version:
      - 2
      - 0
    .max_flat_workgroup_size: 225
    .name:           bluestein_single_fwd_len3375_dim1_sp_op_CI_CI
    .private_segment_fixed_size: 0
    .sgpr_count:     22
    .sgpr_spill_count: 0
    .symbol:         bluestein_single_fwd_len3375_dim1_sp_op_CI_CI.kd
    .uniform_work_group_size: 1
    .uses_dynamic_stack: false
    .vgpr_count:     228
    .vgpr_spill_count: 0
    .wavefront_size: 32
    .workgroup_processor_mode: 1
amdhsa.target:   amdgcn-amd-amdhsa--gfx1100
amdhsa.version:
  - 1
  - 2
...

	.end_amdgpu_metadata
